;; amdgpu-corpus repo=ROCm/rocFFT kind=compiled arch=gfx950 opt=O3
	.text
	.amdgcn_target "amdgcn-amd-amdhsa--gfx950"
	.amdhsa_code_object_version 6
	.protected	fft_rtc_back_len1560_factors_13_2_2_10_3_wgs_156_tpt_156_sp_op_CI_CI_sbrr_dirReg ; -- Begin function fft_rtc_back_len1560_factors_13_2_2_10_3_wgs_156_tpt_156_sp_op_CI_CI_sbrr_dirReg
	.globl	fft_rtc_back_len1560_factors_13_2_2_10_3_wgs_156_tpt_156_sp_op_CI_CI_sbrr_dirReg
	.p2align	8
	.type	fft_rtc_back_len1560_factors_13_2_2_10_3_wgs_156_tpt_156_sp_op_CI_CI_sbrr_dirReg,@function
fft_rtc_back_len1560_factors_13_2_2_10_3_wgs_156_tpt_156_sp_op_CI_CI_sbrr_dirReg: ; @fft_rtc_back_len1560_factors_13_2_2_10_3_wgs_156_tpt_156_sp_op_CI_CI_sbrr_dirReg
; %bb.0:
	s_load_dwordx4 s[12:15], s[0:1], 0x18
	s_load_dwordx4 s[4:7], s[0:1], 0x0
	;; [unrolled: 1-line block ×3, first 2 shown]
	v_mul_u32_u24_e32 v1, 0x1a5, v0
	v_add_u32_sdwa v6, s2, v1 dst_sel:DWORD dst_unused:UNUSED_PAD src0_sel:DWORD src1_sel:WORD_1
	s_waitcnt lgkmcnt(0)
	s_load_dwordx2 s[18:19], s[12:13], 0x0
	s_load_dwordx2 s[16:17], s[14:15], 0x0
	v_mov_b32_e32 v4, 0
	v_cmp_lt_u64_e64 s[2:3], s[6:7], 2
	v_mov_b32_e32 v7, v4
	s_and_b64 vcc, exec, s[2:3]
	v_mov_b64_e32 v[2:3], 0
	s_cbranch_vccnz .LBB0_8
; %bb.1:
	s_load_dwordx2 s[2:3], s[0:1], 0x10
	s_add_u32 s20, s14, 8
	s_addc_u32 s21, s15, 0
	s_add_u32 s22, s12, 8
	s_addc_u32 s23, s13, 0
	s_waitcnt lgkmcnt(0)
	s_add_u32 s24, s2, 8
	v_mov_b64_e32 v[2:3], 0
	s_addc_u32 s25, s3, 0
	s_mov_b64 s[26:27], 1
	v_mov_b64_e32 v[12:13], v[2:3]
.LBB0_2:                                ; =>This Inner Loop Header: Depth=1
	s_load_dwordx2 s[28:29], s[24:25], 0x0
                                        ; implicit-def: $vgpr14_vgpr15
	s_waitcnt lgkmcnt(0)
	v_or_b32_e32 v5, s29, v7
	v_cmp_ne_u64_e32 vcc, 0, v[4:5]
	s_and_saveexec_b64 s[2:3], vcc
	s_xor_b64 s[30:31], exec, s[2:3]
	s_cbranch_execz .LBB0_4
; %bb.3:                                ;   in Loop: Header=BB0_2 Depth=1
	v_cvt_f32_u32_e32 v1, s28
	v_cvt_f32_u32_e32 v5, s29
	s_sub_u32 s2, 0, s28
	s_subb_u32 s3, 0, s29
	v_fmac_f32_e32 v1, 0x4f800000, v5
	v_rcp_f32_e32 v1, v1
	s_nop 0
	v_mul_f32_e32 v1, 0x5f7ffffc, v1
	v_mul_f32_e32 v5, 0x2f800000, v1
	v_trunc_f32_e32 v5, v5
	v_fmac_f32_e32 v1, 0xcf800000, v5
	v_cvt_u32_f32_e32 v5, v5
	v_cvt_u32_f32_e32 v1, v1
	v_mul_lo_u32 v8, s2, v5
	v_mul_hi_u32 v10, s2, v1
	v_mul_lo_u32 v9, s3, v1
	v_add_u32_e32 v10, v10, v8
	v_mul_lo_u32 v14, s2, v1
	v_add_u32_e32 v15, v10, v9
	v_mul_hi_u32 v8, v1, v14
	v_mul_hi_u32 v11, v1, v15
	v_mul_lo_u32 v10, v1, v15
	v_mov_b32_e32 v9, v4
	v_lshl_add_u64 v[8:9], v[8:9], 0, v[10:11]
	v_mul_hi_u32 v11, v5, v14
	v_mul_lo_u32 v14, v5, v14
	v_add_co_u32_e32 v8, vcc, v8, v14
	v_mul_hi_u32 v10, v5, v15
	s_nop 0
	v_addc_co_u32_e32 v8, vcc, v9, v11, vcc
	v_mov_b32_e32 v9, v4
	s_nop 0
	v_addc_co_u32_e32 v11, vcc, 0, v10, vcc
	v_mul_lo_u32 v10, v5, v15
	v_lshl_add_u64 v[8:9], v[8:9], 0, v[10:11]
	v_add_co_u32_e32 v1, vcc, v1, v8
	v_mul_lo_u32 v10, s2, v1
	s_nop 0
	v_addc_co_u32_e32 v5, vcc, v5, v9, vcc
	v_mul_lo_u32 v8, s2, v5
	v_mul_hi_u32 v9, s2, v1
	v_add_u32_e32 v8, v9, v8
	v_mul_lo_u32 v9, s3, v1
	v_add_u32_e32 v14, v8, v9
	v_mul_hi_u32 v16, v5, v10
	v_mul_lo_u32 v17, v5, v10
	v_mul_hi_u32 v9, v1, v14
	v_mul_lo_u32 v8, v1, v14
	v_mul_hi_u32 v10, v1, v10
	v_mov_b32_e32 v11, v4
	v_lshl_add_u64 v[8:9], v[10:11], 0, v[8:9]
	v_add_co_u32_e32 v8, vcc, v8, v17
	v_mul_hi_u32 v15, v5, v14
	s_nop 0
	v_addc_co_u32_e32 v8, vcc, v9, v16, vcc
	v_mul_lo_u32 v10, v5, v14
	s_nop 0
	v_addc_co_u32_e32 v11, vcc, 0, v15, vcc
	v_mov_b32_e32 v9, v4
	v_lshl_add_u64 v[8:9], v[8:9], 0, v[10:11]
	v_add_co_u32_e32 v1, vcc, v1, v8
	v_mul_hi_u32 v10, v6, v1
	s_nop 0
	v_addc_co_u32_e32 v5, vcc, v5, v9, vcc
	v_mad_u64_u32 v[8:9], s[2:3], v6, v5, 0
	v_mov_b32_e32 v11, v4
	v_lshl_add_u64 v[8:9], v[10:11], 0, v[8:9]
	v_mad_u64_u32 v[14:15], s[2:3], v7, v1, 0
	v_add_co_u32_e32 v1, vcc, v8, v14
	v_mad_u64_u32 v[10:11], s[2:3], v7, v5, 0
	s_nop 0
	v_addc_co_u32_e32 v8, vcc, v9, v15, vcc
	v_mov_b32_e32 v9, v4
	s_nop 0
	v_addc_co_u32_e32 v11, vcc, 0, v11, vcc
	v_lshl_add_u64 v[8:9], v[8:9], 0, v[10:11]
	v_mul_lo_u32 v1, s29, v8
	v_mul_lo_u32 v5, s28, v9
	v_mad_u64_u32 v[10:11], s[2:3], s28, v8, 0
	v_add3_u32 v1, v11, v5, v1
	v_sub_u32_e32 v5, v7, v1
	v_mov_b32_e32 v11, s29
	v_sub_co_u32_e32 v16, vcc, v6, v10
	v_lshl_add_u64 v[14:15], v[8:9], 0, 1
	s_nop 0
	v_subb_co_u32_e64 v5, s[2:3], v5, v11, vcc
	v_subrev_co_u32_e64 v10, s[2:3], s28, v16
	v_subb_co_u32_e32 v1, vcc, v7, v1, vcc
	s_nop 0
	v_subbrev_co_u32_e64 v5, s[2:3], 0, v5, s[2:3]
	v_cmp_le_u32_e64 s[2:3], s29, v5
	v_cmp_le_u32_e32 vcc, s29, v1
	s_nop 0
	v_cndmask_b32_e64 v11, 0, -1, s[2:3]
	v_cmp_le_u32_e64 s[2:3], s28, v10
	s_nop 1
	v_cndmask_b32_e64 v10, 0, -1, s[2:3]
	v_cmp_eq_u32_e64 s[2:3], s29, v5
	s_nop 1
	v_cndmask_b32_e64 v5, v11, v10, s[2:3]
	v_lshl_add_u64 v[10:11], v[8:9], 0, 2
	v_cmp_ne_u32_e64 s[2:3], 0, v5
	s_nop 1
	v_cndmask_b32_e64 v5, v15, v11, s[2:3]
	v_cndmask_b32_e64 v11, 0, -1, vcc
	v_cmp_le_u32_e32 vcc, s28, v16
	s_nop 1
	v_cndmask_b32_e64 v15, 0, -1, vcc
	v_cmp_eq_u32_e32 vcc, s29, v1
	s_nop 1
	v_cndmask_b32_e32 v1, v11, v15, vcc
	v_cmp_ne_u32_e32 vcc, 0, v1
	v_cndmask_b32_e64 v1, v14, v10, s[2:3]
	s_nop 0
	v_cndmask_b32_e32 v15, v9, v5, vcc
	v_cndmask_b32_e32 v14, v8, v1, vcc
.LBB0_4:                                ;   in Loop: Header=BB0_2 Depth=1
	s_andn2_saveexec_b64 s[2:3], s[30:31]
	s_cbranch_execz .LBB0_6
; %bb.5:                                ;   in Loop: Header=BB0_2 Depth=1
	v_cvt_f32_u32_e32 v1, s28
	s_sub_i32 s30, 0, s28
	v_mov_b32_e32 v15, v4
	v_rcp_iflag_f32_e32 v1, v1
	s_nop 0
	v_mul_f32_e32 v1, 0x4f7ffffe, v1
	v_cvt_u32_f32_e32 v1, v1
	v_mul_lo_u32 v5, s30, v1
	v_mul_hi_u32 v5, v1, v5
	v_add_u32_e32 v1, v1, v5
	v_mul_hi_u32 v1, v6, v1
	v_mul_lo_u32 v5, v1, s28
	v_sub_u32_e32 v5, v6, v5
	v_add_u32_e32 v8, 1, v1
	v_subrev_u32_e32 v9, s28, v5
	v_cmp_le_u32_e32 vcc, s28, v5
	s_nop 1
	v_cndmask_b32_e32 v5, v5, v9, vcc
	v_cndmask_b32_e32 v1, v1, v8, vcc
	v_add_u32_e32 v8, 1, v1
	v_cmp_le_u32_e32 vcc, s28, v5
	s_nop 1
	v_cndmask_b32_e32 v14, v1, v8, vcc
.LBB0_6:                                ;   in Loop: Header=BB0_2 Depth=1
	s_or_b64 exec, exec, s[2:3]
	v_mad_u64_u32 v[8:9], s[2:3], v14, s28, 0
	s_load_dwordx2 s[2:3], s[22:23], 0x0
	v_mul_lo_u32 v1, v15, s28
	v_mul_lo_u32 v5, v14, s29
	s_load_dwordx2 s[28:29], s[20:21], 0x0
	s_add_u32 s26, s26, 1
	v_add3_u32 v1, v9, v5, v1
	v_sub_co_u32_e32 v5, vcc, v6, v8
	s_addc_u32 s27, s27, 0
	s_nop 0
	v_subb_co_u32_e32 v1, vcc, v7, v1, vcc
	s_add_u32 s20, s20, 8
	s_waitcnt lgkmcnt(0)
	v_mul_lo_u32 v6, s2, v1
	v_mul_lo_u32 v7, s3, v5
	v_mad_u64_u32 v[2:3], s[2:3], s2, v5, v[2:3]
	s_addc_u32 s21, s21, 0
	v_add3_u32 v3, v7, v3, v6
	v_mul_lo_u32 v1, s28, v1
	v_mul_lo_u32 v6, s29, v5
	v_mad_u64_u32 v[12:13], s[2:3], s28, v5, v[12:13]
	s_add_u32 s22, s22, 8
	v_add3_u32 v13, v6, v13, v1
	s_addc_u32 s23, s23, 0
	v_mov_b64_e32 v[6:7], s[6:7]
	s_add_u32 s24, s24, 8
	v_cmp_ge_u64_e32 vcc, s[26:27], v[6:7]
	s_addc_u32 s25, s25, 0
	s_cbranch_vccnz .LBB0_9
; %bb.7:                                ;   in Loop: Header=BB0_2 Depth=1
	v_mov_b64_e32 v[6:7], v[14:15]
	s_branch .LBB0_2
.LBB0_8:
	v_mov_b64_e32 v[12:13], v[2:3]
	v_mov_b64_e32 v[14:15], v[6:7]
.LBB0_9:
	s_load_dwordx2 s[0:1], s[0:1], 0x28
	s_lshl_b64 s[20:21], s[6:7], 3
	s_mov_b32 s6, 0x1a41a42
	v_mul_hi_u32 v1, v0, s6
	v_mul_u32_u24_e32 v1, 0x9c, v1
	s_waitcnt lgkmcnt(0)
	v_cmp_gt_u64_e32 vcc, s[0:1], v[14:15]
	v_sub_u32_e32 v106, v0, v1
	s_movk_i32 s0, 0x78
	s_add_u32 s2, s14, s20
	v_cmp_gt_u32_e64 s[0:1], s0, v106
	v_mov_b32_e32 v0, 0
	s_addc_u32 s3, s15, s21
	s_and_b64 s[14:15], vcc, s[0:1]
	v_mov_b32_e32 v1, v0
                                        ; implicit-def: $vgpr26
                                        ; implicit-def: $vgpr28
                                        ; implicit-def: $vgpr32
                                        ; implicit-def: $vgpr34
                                        ; implicit-def: $vgpr40
                                        ; implicit-def: $vgpr42
                                        ; implicit-def: $vgpr46
                                        ; implicit-def: $vgpr48
                                        ; implicit-def: $vgpr50
                                        ; implicit-def: $vgpr52
                                        ; implicit-def: $vgpr54
                                        ; implicit-def: $vgpr56
	s_and_saveexec_b64 s[6:7], s[14:15]
	s_cbranch_execz .LBB0_11
; %bb.10:
	s_add_u32 s12, s12, s20
	s_addc_u32 s13, s13, s21
	s_load_dwordx2 s[12:13], s[12:13], 0x0
	v_add_u32_e32 v9, 0xf0, v106
	v_add_u32_e32 v11, 0x168, v106
	;; [unrolled: 1-line block ×4, first 2 shown]
	s_waitcnt lgkmcnt(0)
	v_mul_lo_u32 v4, s13, v14
	v_mul_lo_u32 v5, s12, v15
	v_mad_u64_u32 v[0:1], s[12:13], s12, v14, 0
	v_add3_u32 v1, v1, v5, v4
	v_mad_u64_u32 v[4:5], s[12:13], s18, v106, 0
	v_mov_b32_e32 v6, v5
	v_mad_u64_u32 v[6:7], s[12:13], s19, v106, v[6:7]
	v_lshl_add_u64 v[0:1], v[0:1], 3, s[8:9]
	v_mov_b32_e32 v5, v6
	v_lshl_add_u64 v[0:1], v[2:3], 3, v[0:1]
	v_add_u32_e32 v7, 0x78, v106
	v_lshl_add_u64 v[2:3], v[4:5], 3, v[0:1]
	v_mad_u64_u32 v[4:5], s[8:9], s18, v7, 0
	v_mov_b32_e32 v6, v5
	v_mad_u64_u32 v[6:7], s[8:9], s19, v7, v[6:7]
	v_mov_b32_e32 v5, v6
	;; [unrolled: 2-line block ×9, first 2 shown]
	v_mad_u64_u32 v[18:19], s[8:9], s19, v19, v[18:19]
	v_add_u32_e32 v21, 0x2d0, v106
	v_mov_b32_e32 v17, v18
	v_mad_u64_u32 v[18:19], s[8:9], s18, v21, 0
	v_mov_b32_e32 v20, v19
	v_mad_u64_u32 v[20:21], s[8:9], s19, v21, v[20:21]
	v_add_u32_e32 v23, 0x348, v106
	v_mov_b32_e32 v19, v20
	v_mad_u64_u32 v[20:21], s[8:9], s18, v23, 0
	v_mov_b32_e32 v22, v21
	;; [unrolled: 5-line block ×5, first 2 shown]
	v_mad_u64_u32 v[28:29], s[8:9], s19, v29, v[28:29]
	v_mov_b32_e32 v27, v28
	v_add_u32_e32 v29, 0x528, v106
	v_lshl_add_u64 v[30:31], v[26:27], 3, v[0:1]
	v_mad_u64_u32 v[26:27], s[8:9], s18, v29, 0
	v_mov_b32_e32 v28, v27
	v_mad_u64_u32 v[28:29], s[8:9], s19, v29, v[28:29]
	v_mov_b32_e32 v27, v28
	v_add_u32_e32 v29, 0x5a0, v106
	v_lshl_add_u64 v[36:37], v[26:27], 3, v[0:1]
	v_mad_u64_u32 v[26:27], s[8:9], s18, v29, 0
	v_mov_b32_e32 v28, v27
	v_mad_u64_u32 v[28:29], s[8:9], s19, v29, v[28:29]
	v_mov_b32_e32 v27, v28
	v_lshl_add_u64 v[4:5], v[4:5], 3, v[0:1]
	v_lshl_add_u64 v[6:7], v[6:7], 3, v[0:1]
	;; [unrolled: 1-line block ×10, first 2 shown]
	global_load_dwordx2 v[0:1], v[2:3], off
	global_load_dwordx2 v[26:27], v[4:5], off
	;; [unrolled: 1-line block ×13, first 2 shown]
.LBB0_11:
	s_or_b64 exec, exec, s[6:7]
	s_waitcnt vmcnt(0)
	v_pk_add_f32 v[24:25], v[26:27], v[28:29] neg_lo:[0,1] neg_hi:[0,1]
	s_mov_b32 s28, 0xbf52af12
	v_pk_add_f32 v[22:23], v[26:27], v[28:29]
	v_pk_add_f32 v[20:21], v[32:33], v[34:35] neg_lo:[0,1] neg_hi:[0,1]
	s_mov_b32 s8, 0x3f116cb1
	v_pk_mul_f32 v[16:17], v[24:25], s[28:29] op_sel_hi:[1,0]
	s_mov_b32 s14, 0xbf6f5d39
	v_pk_add_f32 v[10:11], v[32:33], v[34:35]
	v_pk_fma_f32 v[58:59], v[22:23], s[8:9], v[16:17] op_sel:[0,0,1] op_sel_hi:[1,0,0]
	v_pk_fma_f32 v[60:61], v[22:23], s[8:9], v[16:17] op_sel:[0,0,1] op_sel_hi:[1,0,0] neg_lo:[0,0,1] neg_hi:[0,0,1]
	s_mov_b32 s12, 0xbeb58ec6
	v_pk_mul_f32 v[18:19], v[20:21], s[14:15] op_sel_hi:[1,0]
	v_mov_b32_e32 v16, v60
	v_mov_b32_e32 v17, v59
	v_pk_fma_f32 v[62:63], v[10:11], s[12:13], v[18:19] op_sel:[0,0,1] op_sel_hi:[1,0,0]
	v_pk_fma_f32 v[64:65], v[10:11], s[12:13], v[18:19] op_sel:[0,0,1] op_sel_hi:[1,0,0] neg_lo:[0,0,1] neg_hi:[0,0,1]
	v_pk_add_f32 v[8:9], v[40:41], v[42:43] neg_lo:[0,1] neg_hi:[0,1]
	v_pk_add_f32 v[16:17], v[0:1], v[16:17]
	v_mov_b32_e32 v18, v64
	v_mov_b32_e32 v19, v63
	s_mov_b32 s26, 0xbe750f2a
	v_pk_add_f32 v[6:7], v[40:41], v[42:43]
	v_pk_add_f32 v[16:17], v[16:17], v[18:19]
	s_mov_b32 s24, 0xbf788fa5
	v_pk_mul_f32 v[18:19], v[8:9], s[26:27] op_sel_hi:[1,0]
	v_pk_add_f32 v[4:5], v[46:47], v[48:49] neg_lo:[0,1] neg_hi:[0,1]
	v_pk_fma_f32 v[66:67], v[6:7], s[24:25], v[18:19] op_sel:[0,0,1] op_sel_hi:[1,0,0]
	v_pk_fma_f32 v[68:69], v[6:7], s[24:25], v[18:19] op_sel:[0,0,1] op_sel_hi:[1,0,0] neg_lo:[0,0,1] neg_hi:[0,0,1]
	v_mov_b32_e32 v19, v67
	v_mov_b32_e32 v18, v68
	s_mov_b32 s38, 0x3f29c268
	v_pk_add_f32 v[2:3], v[46:47], v[48:49]
	v_pk_add_f32 v[16:17], v[16:17], v[18:19]
	s_mov_b32 s22, 0xbf3f9e67
	v_pk_mul_f32 v[18:19], v[4:5], s[38:39] op_sel_hi:[1,0]
	s_mov_b32 s20, 0x3f7e222b
	v_pk_fma_f32 v[70:71], v[2:3], s[22:23], v[18:19] op_sel:[0,0,1] op_sel_hi:[1,0,0]
	v_pk_fma_f32 v[72:73], v[2:3], s[22:23], v[18:19] op_sel:[0,0,1] op_sel_hi:[1,0,0] neg_lo:[0,0,1] neg_hi:[0,0,1]
	v_mov_b32_e32 v19, v71
	v_mov_b32_e32 v18, v72
	v_pk_add_f32 v[36:37], v[50:51], v[52:53] neg_lo:[0,1] neg_hi:[0,1]
	v_pk_add_f32 v[16:17], v[16:17], v[18:19]
	s_mov_b32 s18, 0x3df6dbef
	v_pk_add_f32 v[30:31], v[50:51], v[52:53]
	v_pk_mul_f32 v[18:19], v[36:37], s[20:21] op_sel_hi:[1,0]
	s_mov_b32 s34, 0x3eedf032
	v_pk_fma_f32 v[74:75], v[30:31], s[18:19], v[18:19] op_sel:[0,0,1] op_sel_hi:[1,0,0]
	v_pk_fma_f32 v[76:77], v[30:31], s[18:19], v[18:19] op_sel:[0,0,1] op_sel_hi:[1,0,0] neg_lo:[0,0,1] neg_hi:[0,0,1]
	v_mov_b32_e32 v19, v75
	v_mov_b32_e32 v18, v76
	v_pk_add_f32 v[44:45], v[54:55], v[56:57] neg_lo:[0,1] neg_hi:[0,1]
	v_pk_add_f32 v[16:17], v[16:17], v[18:19]
	s_mov_b32 s30, 0x3f62ad3f
	v_pk_add_f32 v[38:39], v[54:55], v[56:57]
	v_pk_mul_f32 v[18:19], v[44:45], s[34:35] op_sel_hi:[1,0]
	s_mov_b32 s40, 0xbf7e222b
	v_pk_fma_f32 v[78:79], v[38:39], s[30:31], v[18:19] op_sel:[0,0,1] op_sel_hi:[1,0,0]
	v_pk_fma_f32 v[80:81], v[38:39], s[30:31], v[18:19] op_sel:[0,0,1] op_sel_hi:[1,0,0] neg_lo:[0,0,1] neg_hi:[0,0,1]
	v_mov_b32_e32 v19, v79
	v_mov_b32_e32 v18, v80
	v_pk_add_f32 v[16:17], v[16:17], v[18:19]
	v_pk_mul_f32 v[18:19], v[24:25], s[40:41] op_sel_hi:[1,0]
	v_pk_mul_f32 v[88:89], v[20:21], s[26:27] op_sel_hi:[1,0]
	v_pk_fma_f32 v[82:83], v[22:23], s[18:19], v[18:19] op_sel:[0,0,1] op_sel_hi:[1,0,0] neg_lo:[0,0,1] neg_hi:[0,0,1]
	v_pk_fma_f32 v[84:85], v[22:23], s[18:19], v[18:19] op_sel:[0,0,1] op_sel_hi:[1,0,0]
	v_mov_b32_e32 v18, v82
	v_mov_b32_e32 v19, v85
	v_pk_fma_f32 v[86:87], v[10:11], s[24:25], v[88:89] op_sel:[0,0,1] op_sel_hi:[1,0,0] neg_lo:[0,0,1] neg_hi:[0,0,1]
	v_pk_fma_f32 v[88:89], v[10:11], s[24:25], v[88:89] op_sel:[0,0,1] op_sel_hi:[1,0,0]
	s_mov_b32 s6, 0x3f6f5d39
	v_pk_add_f32 v[18:19], v[0:1], v[18:19]
	v_mov_b32_e32 v90, v86
	v_mov_b32_e32 v91, v89
	v_pk_mul_f32 v[92:93], v[8:9], s[6:7] op_sel_hi:[1,0]
	v_pk_add_f32 v[18:19], v[18:19], v[90:91]
	v_pk_fma_f32 v[90:91], v[6:7], s[12:13], v[92:93] op_sel:[0,0,1] op_sel_hi:[1,0,0] neg_lo:[0,0,1] neg_hi:[0,0,1]
	v_pk_fma_f32 v[92:93], v[6:7], s[12:13], v[92:93] op_sel:[0,0,1] op_sel_hi:[1,0,0]
	v_mov_b32_e32 v94, v90
	v_mov_b32_e32 v95, v93
	v_pk_mul_f32 v[96:97], v[4:5], s[34:35] op_sel_hi:[1,0]
	v_pk_add_f32 v[18:19], v[18:19], v[94:95]
	v_pk_fma_f32 v[94:95], v[2:3], s[30:31], v[96:97] op_sel:[0,0,1] op_sel_hi:[1,0,0] neg_lo:[0,0,1] neg_hi:[0,0,1]
	v_pk_fma_f32 v[96:97], v[2:3], s[30:31], v[96:97] op_sel:[0,0,1] op_sel_hi:[1,0,0]
	;; [unrolled: 6-line block ×3, first 2 shown]
	s_mov_b32 s36, 0xbf29c268
	v_mov_b32_e32 v102, v98
	v_mov_b32_e32 v103, v101
	v_pk_mul_f32 v[104:105], v[44:45], s[36:37] op_sel_hi:[1,0]
	v_pk_add_f32 v[18:19], v[18:19], v[102:103]
	v_pk_fma_f32 v[102:103], v[38:39], s[22:23], v[104:105] op_sel:[0,0,1] op_sel_hi:[1,0,0] neg_lo:[0,0,1] neg_hi:[0,0,1]
	v_pk_fma_f32 v[104:105], v[38:39], s[22:23], v[104:105] op_sel:[0,0,1] op_sel_hi:[1,0,0]
	v_mov_b32_e32 v108, v102
	v_mov_b32_e32 v109, v105
	v_pk_add_f32 v[18:19], v[18:19], v[108:109]
	s_and_saveexec_b64 s[6:7], s[0:1]
	s_cbranch_execz .LBB0_13
; %bb.12:
	v_pk_add_f32 v[26:27], v[0:1], v[26:27]
	v_mov_b32_e32 v59, v61
	v_pk_add_f32 v[26:27], v[26:27], v[32:33]
	v_mov_b32_e32 v85, v83
	v_pk_add_f32 v[26:27], v[26:27], v[40:41]
	v_mov_b32_e32 v63, v65
	v_pk_add_f32 v[26:27], v[26:27], v[46:47]
	v_pk_add_f32 v[58:59], v[0:1], v[58:59]
	;; [unrolled: 1-line block ×5, first 2 shown]
	v_mov_b32_e32 v89, v87
	v_pk_add_f32 v[26:27], v[26:27], v[56:57]
	v_pk_add_f32 v[58:59], v[58:59], v[62:63]
	;; [unrolled: 1-line block ×3, first 2 shown]
	v_mov_b32_e32 v67, v69
	v_pk_add_f32 v[26:27], v[48:49], v[26:27]
	v_pk_add_f32 v[60:61], v[60:61], v[88:89]
	;; [unrolled: 1-line block ×3, first 2 shown]
	v_mov_b32_e32 v93, v91
	v_pk_add_f32 v[26:27], v[34:35], v[26:27]
	s_mov_b32 s0, 0xbeedf032
	v_pk_add_f32 v[58:59], v[58:59], v[66:67]
	v_mov_b32_e32 v71, v73
	v_pk_add_f32 v[60:61], v[60:61], v[92:93]
	v_mov_b32_e32 v97, v95
	v_pk_add_f32 v[108:109], v[28:29], v[26:27]
	v_pk_mul_f32 v[28:29], v[24:25], s[0:1] op_sel_hi:[1,0]
	v_pk_add_f32 v[58:59], v[58:59], v[70:71]
	v_mov_b32_e32 v75, v77
	v_pk_add_f32 v[60:61], v[60:61], v[96:97]
	v_mov_b32_e32 v101, v99
	v_pk_fma_f32 v[26:27], v[22:23], s[30:31], v[28:29] op_sel:[0,0,1] op_sel_hi:[1,0,0]
	s_movk_i32 s0, 0x68
	v_pk_add_f32 v[58:59], v[58:59], v[74:75]
	v_mov_b32_e32 v79, v81
	v_pk_add_f32 v[60:61], v[60:61], v[100:101]
	v_mov_b32_e32 v105, v103
	v_mov_b32_e32 v32, v26
	v_mad_u32_u24 v26, v106, s0, 0
	v_pk_add_f32 v[58:59], v[58:59], v[78:79]
	v_pk_add_f32 v[60:61], v[60:61], v[104:105]
	ds_write2_b64 v26, v[58:59], v[60:61] offset0:2 offset1:3
	v_pk_mul_f32 v[58:59], v[24:25], s[14:15] op_sel_hi:[1,0]
	v_pk_mul_f32 v[64:65], v[20:21], s[38:39] op_sel_hi:[1,0]
	v_pk_fma_f32 v[60:61], v[22:23], s[12:13], v[58:59] op_sel:[0,0,1] op_sel_hi:[1,0,0]
	v_pk_fma_f32 v[58:59], v[22:23], s[12:13], v[58:59] op_sel:[0,0,1] op_sel_hi:[1,0,0] neg_lo:[0,0,1] neg_hi:[0,0,1]
	v_mov_b32_e32 v62, v60
	v_mov_b32_e32 v63, v59
	v_pk_fma_f32 v[66:67], v[10:11], s[22:23], v[64:65] op_sel:[0,0,1] op_sel_hi:[1,0,0]
	v_pk_fma_f32 v[64:65], v[10:11], s[22:23], v[64:65] op_sel:[0,0,1] op_sel_hi:[1,0,0] neg_lo:[0,0,1] neg_hi:[0,0,1]
	v_pk_add_f32 v[62:63], v[0:1], v[62:63]
	v_mov_b32_e32 v68, v66
	v_mov_b32_e32 v69, v65
	v_pk_add_f32 v[62:63], v[62:63], v[68:69]
	v_pk_mul_f32 v[68:69], v[8:9], s[34:35] op_sel_hi:[1,0]
	s_mov_b32 s0, 0x3e750f2a
	v_pk_fma_f32 v[70:71], v[6:7], s[30:31], v[68:69] op_sel:[0,0,1] op_sel_hi:[1,0,0]
	v_pk_fma_f32 v[68:69], v[6:7], s[30:31], v[68:69] op_sel:[0,0,1] op_sel_hi:[1,0,0] neg_lo:[0,0,1] neg_hi:[0,0,1]
	v_mov_b32_e32 v72, v70
	v_mov_b32_e32 v73, v69
	v_pk_add_f32 v[62:63], v[62:63], v[72:73]
	v_pk_mul_f32 v[72:73], v[4:5], s[40:41] op_sel_hi:[1,0]
	v_pk_fma_f32 v[28:29], v[22:23], s[30:31], v[28:29] op_sel:[0,0,1] op_sel_hi:[1,0,0] neg_lo:[0,0,1] neg_hi:[0,0,1]
	v_pk_fma_f32 v[74:75], v[2:3], s[18:19], v[72:73] op_sel:[0,0,1] op_sel_hi:[1,0,0]
	v_pk_fma_f32 v[72:73], v[2:3], s[18:19], v[72:73] op_sel:[0,0,1] op_sel_hi:[1,0,0] neg_lo:[0,0,1] neg_hi:[0,0,1]
	v_mov_b32_e32 v76, v74
	v_mov_b32_e32 v77, v73
	v_pk_add_f32 v[62:63], v[62:63], v[76:77]
	v_pk_mul_f32 v[76:77], v[36:37], s[0:1] op_sel_hi:[1,0]
	v_mov_b32_e32 v33, v29
	v_pk_fma_f32 v[78:79], v[30:31], s[24:25], v[76:77] op_sel:[0,0,1] op_sel_hi:[1,0,0]
	v_pk_fma_f32 v[76:77], v[30:31], s[24:25], v[76:77] op_sel:[0,0,1] op_sel_hi:[1,0,0] neg_lo:[0,0,1] neg_hi:[0,0,1]
	v_pk_mul_f32 v[34:35], v[20:21], s[28:29] op_sel_hi:[1,0]
	v_mov_b32_e32 v80, v78
	v_mov_b32_e32 v81, v77
	s_mov_b32 s38, 0x3f52af12
	v_pk_add_f32 v[40:41], v[0:1], v[32:33]
	v_pk_fma_f32 v[32:33], v[10:11], s[8:9], v[34:35] op_sel:[0,0,1] op_sel_hi:[1,0,0]
	v_pk_fma_f32 v[34:35], v[10:11], s[8:9], v[34:35] op_sel:[0,0,1] op_sel_hi:[1,0,0] neg_lo:[0,0,1] neg_hi:[0,0,1]
	v_pk_add_f32 v[62:63], v[62:63], v[80:81]
	v_pk_mul_f32 v[80:81], v[44:45], s[38:39] op_sel_hi:[1,0]
	v_mov_b32_e32 v42, v32
	v_mov_b32_e32 v43, v35
	v_pk_fma_f32 v[82:83], v[38:39], s[8:9], v[80:81] op_sel:[0,0,1] op_sel_hi:[1,0,0]
	v_pk_fma_f32 v[80:81], v[38:39], s[8:9], v[80:81] op_sel:[0,0,1] op_sel_hi:[1,0,0] neg_lo:[0,0,1] neg_hi:[0,0,1]
	v_pk_add_f32 v[46:47], v[40:41], v[42:43]
	v_pk_mul_f32 v[42:43], v[8:9], s[40:41] op_sel_hi:[1,0]
	v_mov_b32_e32 v84, v82
	v_mov_b32_e32 v85, v81
	;; [unrolled: 6-line block ×3, first 2 shown]
	v_pk_fma_f32 v[86:87], v[22:23], s[22:23], v[84:85] op_sel:[0,0,1] op_sel_hi:[1,0,0]
	v_pk_fma_f32 v[84:85], v[22:23], s[22:23], v[84:85] op_sel:[0,0,1] op_sel_hi:[1,0,0] neg_lo:[0,0,1] neg_hi:[0,0,1]
	v_pk_mul_f32 v[90:91], v[20:21], s[20:21] op_sel_hi:[1,0]
	v_pk_add_f32 v[50:51], v[46:47], v[48:49]
	v_pk_mul_f32 v[48:49], v[4:5], s[14:15] op_sel_hi:[1,0]
	v_mov_b32_e32 v88, v86
	v_mov_b32_e32 v89, v85
	v_pk_fma_f32 v[92:93], v[10:11], s[18:19], v[90:91] op_sel:[0,0,1] op_sel_hi:[1,0,0]
	v_pk_fma_f32 v[90:91], v[10:11], s[18:19], v[90:91] op_sel:[0,0,1] op_sel_hi:[1,0,0] neg_lo:[0,0,1] neg_hi:[0,0,1]
	v_pk_fma_f32 v[46:47], v[2:3], s[12:13], v[48:49] op_sel:[0,0,1] op_sel_hi:[1,0,0]
	v_pk_fma_f32 v[48:49], v[2:3], s[12:13], v[48:49] op_sel:[0,0,1] op_sel_hi:[1,0,0] neg_lo:[0,0,1] neg_hi:[0,0,1]
	v_pk_add_f32 v[88:89], v[0:1], v[88:89]
	v_mov_b32_e32 v94, v92
	v_mov_b32_e32 v95, v91
	;; [unrolled: 1-line block ×4, first 2 shown]
	v_pk_add_f32 v[88:89], v[88:89], v[94:95]
	v_pk_mul_f32 v[94:95], v[8:9], s[28:29] op_sel_hi:[1,0]
	v_pk_add_f32 v[54:55], v[50:51], v[52:53]
	v_pk_mul_f32 v[52:53], v[36:37], s[36:37] op_sel_hi:[1,0]
	v_pk_fma_f32 v[96:97], v[6:7], s[8:9], v[94:95] op_sel:[0,0,1] op_sel_hi:[1,0,0]
	v_pk_fma_f32 v[94:95], v[6:7], s[8:9], v[94:95] op_sel:[0,0,1] op_sel_hi:[1,0,0] neg_lo:[0,0,1] neg_hi:[0,0,1]
	v_pk_fma_f32 v[50:51], v[30:31], s[22:23], v[52:53] op_sel:[0,0,1] op_sel_hi:[1,0,0]
	v_pk_fma_f32 v[52:53], v[30:31], s[22:23], v[52:53] op_sel:[0,0,1] op_sel_hi:[1,0,0] neg_lo:[0,0,1] neg_hi:[0,0,1]
	v_mov_b32_e32 v98, v96
	v_mov_b32_e32 v99, v95
	;; [unrolled: 1-line block ×4, first 2 shown]
	v_pk_add_f32 v[88:89], v[88:89], v[98:99]
	v_pk_mul_f32 v[98:99], v[4:5], s[0:1] op_sel_hi:[1,0]
	v_pk_add_f32 v[110:111], v[54:55], v[56:57]
	v_pk_mul_f32 v[56:57], v[44:45], s[26:27] op_sel_hi:[1,0]
	v_pk_fma_f32 v[100:101], v[2:3], s[24:25], v[98:99] op_sel:[0,0,1] op_sel_hi:[1,0,0]
	v_pk_fma_f32 v[98:99], v[2:3], s[24:25], v[98:99] op_sel:[0,0,1] op_sel_hi:[1,0,0] neg_lo:[0,0,1] neg_hi:[0,0,1]
	v_pk_fma_f32 v[54:55], v[38:39], s[24:25], v[56:57] op_sel:[0,0,1] op_sel_hi:[1,0,0]
	v_pk_fma_f32 v[56:57], v[38:39], s[24:25], v[56:57] op_sel:[0,0,1] op_sel_hi:[1,0,0] neg_lo:[0,0,1] neg_hi:[0,0,1]
	v_mov_b32_e32 v102, v100
	v_mov_b32_e32 v103, v99
	;; [unrolled: 1-line block ×4, first 2 shown]
	v_pk_add_f32 v[88:89], v[88:89], v[102:103]
	v_pk_mul_f32 v[102:103], v[36:37], s[34:35] op_sel_hi:[1,0]
	v_pk_add_f32 v[110:111], v[110:111], v[112:113]
	v_pk_fma_f32 v[104:105], v[30:31], s[30:31], v[102:103] op_sel:[0,0,1] op_sel_hi:[1,0,0]
	v_pk_fma_f32 v[102:103], v[30:31], s[30:31], v[102:103] op_sel:[0,0,1] op_sel_hi:[1,0,0] neg_lo:[0,0,1] neg_hi:[0,0,1]
	ds_write2_b64 v26, v[108:109], v[110:111] offset1:1
	v_mov_b32_e32 v108, v104
	v_mov_b32_e32 v109, v103
	v_pk_add_f32 v[88:89], v[88:89], v[108:109]
	v_pk_mul_f32 v[108:109], v[44:45], s[14:15] op_sel_hi:[1,0]
	v_pk_mul_f32 v[24:25], v[24:25], s[26:27] op_sel_hi:[1,0]
	v_pk_fma_f32 v[110:111], v[38:39], s[12:13], v[108:109] op_sel:[0,0,1] op_sel_hi:[1,0,0]
	v_pk_fma_f32 v[108:109], v[38:39], s[12:13], v[108:109] op_sel:[0,0,1] op_sel_hi:[1,0,0] neg_lo:[0,0,1] neg_hi:[0,0,1]
	v_mov_b32_e32 v112, v110
	v_mov_b32_e32 v113, v109
	v_pk_add_f32 v[88:89], v[88:89], v[112:113]
	ds_write2_b64 v26, v[62:63], v[88:89] offset0:4 offset1:5
	v_pk_fma_f32 v[62:63], v[22:23], s[24:25], v[24:25] op_sel:[0,0,1] op_sel_hi:[1,0,0]
	v_pk_fma_f32 v[22:23], v[22:23], s[24:25], v[24:25] op_sel:[0,0,1] op_sel_hi:[1,0,0] neg_lo:[0,0,1] neg_hi:[0,0,1]
	v_pk_mul_f32 v[20:21], v[20:21], s[34:35] op_sel_hi:[1,0]
	v_pk_mul_f32 v[8:9], v[8:9], s[36:37] op_sel_hi:[1,0]
	v_pk_fma_f32 v[24:25], v[10:11], s[30:31], v[20:21] op_sel:[0,0,1] op_sel_hi:[1,0,0]
	v_pk_fma_f32 v[10:11], v[10:11], s[30:31], v[20:21] op_sel:[0,0,1] op_sel_hi:[1,0,0] neg_lo:[0,0,1] neg_hi:[0,0,1]
	v_mov_b32_e32 v20, v62
	v_mov_b32_e32 v21, v23
	v_pk_add_f32 v[20:21], v[0:1], v[20:21]
	v_mov_b32_e32 v88, v24
	v_mov_b32_e32 v89, v11
	v_pk_add_f32 v[20:21], v[20:21], v[88:89]
	v_pk_fma_f32 v[88:89], v[6:7], s[22:23], v[8:9] op_sel:[0,0,1] op_sel_hi:[1,0,0]
	v_pk_fma_f32 v[6:7], v[6:7], s[22:23], v[8:9] op_sel:[0,0,1] op_sel_hi:[1,0,0] neg_lo:[0,0,1] neg_hi:[0,0,1]
	v_mov_b32_e32 v8, v88
	v_mov_b32_e32 v9, v7
	v_pk_mul_f32 v[4:5], v[4:5], s[38:39] op_sel_hi:[1,0]
	v_pk_add_f32 v[8:9], v[20:21], v[8:9]
	v_pk_fma_f32 v[20:21], v[2:3], s[8:9], v[4:5] op_sel:[0,0,1] op_sel_hi:[1,0,0]
	v_pk_fma_f32 v[2:3], v[2:3], s[8:9], v[4:5] op_sel:[0,0,1] op_sel_hi:[1,0,0] neg_lo:[0,0,1] neg_hi:[0,0,1]
	v_mov_b32_e32 v4, v20
	v_mov_b32_e32 v5, v3
	v_pk_add_f32 v[4:5], v[8:9], v[4:5]
	v_pk_mul_f32 v[8:9], v[36:37], s[14:15] op_sel_hi:[1,0]
	v_mov_b32_e32 v23, v63
	v_pk_fma_f32 v[36:37], v[30:31], s[12:13], v[8:9] op_sel:[0,0,1] op_sel_hi:[1,0,0]
	v_pk_fma_f32 v[8:9], v[30:31], s[12:13], v[8:9] op_sel:[0,0,1] op_sel_hi:[1,0,0] neg_lo:[0,0,1] neg_hi:[0,0,1]
	v_mov_b32_e32 v11, v25
	v_pk_add_f32 v[22:23], v[0:1], v[22:23]
	v_mov_b32_e32 v30, v36
	v_mov_b32_e32 v31, v9
	v_pk_add_f32 v[10:11], v[22:23], v[10:11]
	v_mov_b32_e32 v7, v89
	v_pk_add_f32 v[4:5], v[4:5], v[30:31]
	v_pk_mul_f32 v[30:31], v[44:45], s[20:21] op_sel_hi:[1,0]
	v_pk_add_f32 v[6:7], v[10:11], v[6:7]
	v_mov_b32_e32 v3, v21
	v_pk_fma_f32 v[44:45], v[38:39], s[18:19], v[30:31] op_sel:[0,0,1] op_sel_hi:[1,0,0]
	v_pk_fma_f32 v[30:31], v[38:39], s[18:19], v[30:31] op_sel:[0,0,1] op_sel_hi:[1,0,0] neg_lo:[0,0,1] neg_hi:[0,0,1]
	v_pk_add_f32 v[2:3], v[6:7], v[2:3]
	v_mov_b32_e32 v9, v37
	v_mov_b32_e32 v38, v44
	;; [unrolled: 1-line block ×3, first 2 shown]
	v_pk_add_f32 v[2:3], v[2:3], v[8:9]
	v_mov_b32_e32 v31, v45
	v_pk_add_f32 v[4:5], v[4:5], v[38:39]
	v_pk_add_f32 v[2:3], v[2:3], v[30:31]
	v_mov_b32_e32 v85, v87
	v_mov_b32_e32 v59, v61
	;; [unrolled: 1-line block ×3, first 2 shown]
	ds_write2_b64 v26, v[4:5], v[2:3] offset0:6 offset1:7
	v_pk_add_f32 v[2:3], v[0:1], v[84:85]
	v_mov_b32_e32 v91, v93
	v_pk_add_f32 v[4:5], v[0:1], v[58:59]
	v_mov_b32_e32 v65, v67
	;; [unrolled: 2-line block ×15, first 2 shown]
	v_pk_add_f32 v[2:3], v[2:3], v[108:109]
	v_pk_add_f32 v[4:5], v[4:5], v[80:81]
	;; [unrolled: 1-line block ×3, first 2 shown]
	ds_write2_b64 v26, v[2:3], v[4:5] offset0:8 offset1:9
	ds_write2_b64 v26, v[18:19], v[16:17] offset0:10 offset1:11
	ds_write_b64 v26, v[0:1] offset:96
.LBB0_13:
	s_or_b64 exec, exec, s[6:7]
	v_add_u32_e32 v24, 0x138, v106
	s_movk_i32 s0, 0x4ec5
	v_add_u32_e32 v31, 0x9c, v106
	v_mul_u32_u24_sdwa v57, v24, s0 dst_sel:DWORD dst_unused:UNUSED_PAD src0_sel:WORD_0 src1_sel:DWORD
	v_add_u32_e32 v33, 0x270, v106
	v_mul_u32_u24_sdwa v56, v31, s0 dst_sel:DWORD dst_unused:UNUSED_PAD src0_sel:WORD_0 src1_sel:DWORD
	v_lshrrev_b32_e32 v47, 18, v57
	v_add_u32_e32 v30, 0x1d4, v106
	v_lshrrev_b32_e32 v46, 18, v56
	v_mul_lo_u16_e32 v1, 13, v47
	v_mul_u32_u24_sdwa v59, v33, s0 dst_sel:DWORD dst_unused:UNUSED_PAD src0_sel:WORD_0 src1_sel:DWORD
	v_mul_lo_u16_e32 v0, 13, v46
	v_sub_u16_e32 v1, v24, v1
	v_mul_u32_u24_sdwa v58, v30, s0 dst_sel:DWORD dst_unused:UNUSED_PAD src0_sel:WORD_0 src1_sel:DWORD
	v_lshrrev_b32_e32 v51, 18, v59
	v_sub_u16_e32 v0, v31, v0
	v_lshlrev_b32_e32 v49, 3, v1
	v_lshrrev_b32_e32 v50, 18, v58
	v_mul_lo_u16_e32 v1, 13, v51
	v_lshlrev_b32_e32 v48, 3, v0
	v_mul_lo_u16_e32 v0, 13, v50
	v_sub_u16_e32 v1, v33, v1
	v_sub_u16_e32 v0, v30, v0
	v_lshlrev_b32_e32 v53, 3, v1
	s_movk_i32 s0, 0x4f
	s_load_dwordx2 s[2:3], s[2:3], 0x0
	s_waitcnt lgkmcnt(0)
	s_barrier
	v_lshlrev_b32_e32 v52, 3, v0
	global_load_dwordx2 v[8:9], v53, s[4:5]
	global_load_dwordx2 v[10:11], v52, s[4:5]
	;; [unrolled: 1-line block ×4, first 2 shown]
	v_mul_lo_u16_sdwa v60, v106, s0 dst_sel:DWORD dst_unused:UNUSED_PAD src0_sel:BYTE_0 src1_sel:DWORD
	v_lshrrev_b16_e32 v54, 10, v60
	v_mul_lo_u16_e32 v0, 13, v54
	v_sub_u16_e32 v0, v106, v0
	v_mov_b32_e32 v61, 3
	v_lshlrev_b32_sdwa v55, v61, v0 dst_sel:DWORD dst_unused:UNUSED_PAD src0_sel:DWORD src1_sel:BYTE_0
	global_load_dwordx2 v[28:29], v55, s[4:5]
	v_lshl_add_u32 v25, v106, 3, 0
	v_add_u32_e32 v62, 0x1800, v25
	s_mov_b32 s1, 0x5040100
	v_lshl_add_u32 v23, v31, 3, 0
	v_lshl_add_u32 v22, v24, 3, 0
	v_add_u32_e32 v63, 0x2000, v25
	v_lshl_add_u32 v32, v30, 3, 0
	v_lshl_add_u32 v64, v33, 3, 0
	ds_read2_b64 v[0:3], v62 offset0:12 offset1:168
	ds_read2_b64 v[4:7], v63 offset0:68 offset1:224
	ds_read_b64 v[34:35], v64
	ds_read_b64 v[36:37], v22
	;; [unrolled: 1-line block ×4, first 2 shown]
	ds_read_b64 v[42:43], v25 offset:11232
	ds_read_b64 v[44:45], v25
	s_movk_i32 s0, 0xd0
	v_perm_b32 v46, v47, v46, s1
	v_perm_b32 v47, v51, v50, s1
	v_pk_mul_lo_u16 v46, v46, s0 op_sel_hi:[1,0]
	v_pk_mul_lo_u16 v47, v47, s0 op_sel_hi:[1,0]
	v_and_b32_e32 v50, 0xfff0, v46
	v_lshrrev_b32_e32 v46, 16, v46
	v_and_b32_e32 v51, 0xfff0, v47
	v_lshrrev_b32_e32 v47, 16, v47
	v_mul_u32_u24_e32 v54, 0xd0, v54
	v_add3_u32 v66, 0, v50, v48
	v_add3_u32 v67, 0, v46, v49
	;; [unrolled: 1-line block ×5, first 2 shown]
	s_waitcnt lgkmcnt(0)
	s_barrier
	s_mov_b32 s0, 0x3f737871
	s_mov_b32 s8, 0x3f167918
	;; [unrolled: 1-line block ×6, first 2 shown]
	s_waitcnt vmcnt(4)
	v_pk_mul_f32 v[46:47], v[8:9], v[42:43] op_sel:[0,1]
	s_waitcnt vmcnt(3)
	v_pk_mul_f32 v[48:49], v[10:11], v[6:7] op_sel:[0,1]
	;; [unrolled: 2-line block ×3, first 2 shown]
	v_pk_fma_f32 v[54:55], v[8:9], v[42:43], v[46:47] op_sel:[0,0,1] op_sel_hi:[1,1,0]
	v_pk_fma_f32 v[8:9], v[8:9], v[42:43], v[46:47] op_sel:[0,0,1] op_sel_hi:[1,0,0] neg_lo:[1,0,0] neg_hi:[1,0,0]
	v_pk_fma_f32 v[42:43], v[10:11], v[6:7], v[48:49] op_sel:[0,0,1] op_sel_hi:[1,1,0]
	v_pk_fma_f32 v[6:7], v[10:11], v[6:7], v[48:49] op_sel:[0,0,1] op_sel_hi:[1,0,0] neg_lo:[1,0,0] neg_hi:[1,0,0]
	;; [unrolled: 2-line block ×3, first 2 shown]
	v_mov_b32_e32 v55, v9
	v_mov_b32_e32 v11, v5
	s_waitcnt vmcnt(1)
	v_pk_mul_f32 v[52:53], v[26:27], v[2:3] op_sel:[0,1]
	v_pk_add_f32 v[4:5], v[34:35], v[54:55] neg_lo:[0,1] neg_hi:[0,1]
	v_pk_add_f32 v[8:9], v[36:37], v[10:11] neg_lo:[0,1] neg_hi:[0,1]
	v_pk_fma_f32 v[10:11], v[34:35], 2.0, v[4:5] op_sel_hi:[1,0,1] neg_lo:[0,0,1] neg_hi:[0,0,1]
	v_pk_fma_f32 v[34:35], v[36:37], 2.0, v[8:9] op_sel_hi:[1,0,1] neg_lo:[0,0,1] neg_hi:[0,0,1]
	v_pk_fma_f32 v[36:37], v[26:27], v[2:3], v[52:53] op_sel:[0,0,1] op_sel_hi:[1,1,0]
	v_pk_fma_f32 v[2:3], v[26:27], v[2:3], v[52:53] op_sel:[0,0,1] op_sel_hi:[1,0,0] neg_lo:[1,0,0] neg_hi:[1,0,0]
	v_mov_b32_e32 v43, v7
	v_mov_b32_e32 v37, v3
	v_pk_add_f32 v[6:7], v[38:39], v[42:43] neg_lo:[0,1] neg_hi:[0,1]
	v_pk_add_f32 v[2:3], v[40:41], v[36:37] neg_lo:[0,1] neg_hi:[0,1]
	s_waitcnt vmcnt(0)
	v_pk_mul_f32 v[36:37], v[28:29], v[0:1] op_sel:[0,1]
	v_pk_fma_f32 v[20:21], v[38:39], 2.0, v[6:7] op_sel_hi:[1,0,1] neg_lo:[0,0,1] neg_hi:[0,0,1]
	v_pk_fma_f32 v[38:39], v[28:29], v[0:1], v[36:37] op_sel:[0,0,1] op_sel_hi:[1,1,0]
	v_pk_fma_f32 v[0:1], v[28:29], v[0:1], v[36:37] op_sel:[0,0,1] op_sel_hi:[1,0,0] neg_lo:[1,0,0] neg_hi:[1,0,0]
	v_pk_fma_f32 v[26:27], v[40:41], 2.0, v[2:3] op_sel_hi:[1,0,1] neg_lo:[0,0,1] neg_hi:[0,0,1]
	v_mov_b32_e32 v39, v1
	v_pk_add_f32 v[0:1], v[44:45], v[38:39] neg_lo:[0,1] neg_hi:[0,1]
	s_nop 0
	v_pk_fma_f32 v[28:29], v[44:45], 2.0, v[0:1] op_sel_hi:[1,0,1] neg_lo:[0,0,1] neg_hi:[0,0,1]
	ds_write2_b64 v65, v[28:29], v[0:1] offset1:13
	ds_write2_b64 v66, v[26:27], v[2:3] offset1:13
	;; [unrolled: 1-line block ×5, first 2 shown]
	v_lshrrev_b32_e32 v6, 19, v59
	v_lshrrev_b32_e32 v0, 19, v56
	;; [unrolled: 1-line block ×4, first 2 shown]
	v_mul_lo_u16_e32 v7, 26, v6
	v_mul_lo_u16_e32 v1, 26, v0
	;; [unrolled: 1-line block ×4, first 2 shown]
	v_sub_u16_e32 v7, v33, v7
	v_lshrrev_b16_e32 v33, 11, v60
	v_sub_u16_e32 v1, v31, v1
	v_sub_u16_e32 v3, v24, v3
	;; [unrolled: 1-line block ×3, first 2 shown]
	v_lshlrev_b32_e32 v7, 3, v7
	v_mul_lo_u16_e32 v28, 26, v33
	s_waitcnt lgkmcnt(0)
	s_barrier
	v_lshlrev_b32_e32 v1, 3, v1
	v_lshlrev_b32_e32 v3, 3, v3
	;; [unrolled: 1-line block ×3, first 2 shown]
	global_load_dwordx2 v[8:9], v7, s[4:5] offset:104
	global_load_dwordx2 v[10:11], v5, s[4:5] offset:104
	;; [unrolled: 1-line block ×4, first 2 shown]
	v_sub_u16_e32 v28, v106, v28
	v_lshlrev_b32_sdwa v34, v61, v28 dst_sel:DWORD dst_unused:UNUSED_PAD src0_sel:DWORD src1_sel:BYTE_0
	global_load_dwordx2 v[28:29], v34, s[4:5] offset:104
	v_mul_u32_u24_e32 v33, 0x1a0, v33
	v_mul_u32_u24_e32 v0, 0x1a0, v0
	;; [unrolled: 1-line block ×5, first 2 shown]
	v_add3_u32 v33, 0, v33, v34
	v_add3_u32 v56, 0, v0, v1
	;; [unrolled: 1-line block ×5, first 2 shown]
	ds_read2_b64 v[0:3], v62 offset0:12 offset1:168
	ds_read2_b64 v[4:7], v63 offset0:68 offset1:224
	ds_read_b64 v[34:35], v25 offset:11232
	ds_read_b64 v[36:37], v64
	ds_read_b64 v[38:39], v22
	;; [unrolled: 1-line block ×5, first 2 shown]
	s_waitcnt lgkmcnt(0)
	s_barrier
	s_waitcnt vmcnt(4)
	v_pk_mul_f32 v[46:47], v[8:9], v[34:35] op_sel:[0,1]
	s_waitcnt vmcnt(3)
	v_pk_mul_f32 v[48:49], v[10:11], v[6:7] op_sel:[0,1]
	;; [unrolled: 2-line block ×3, first 2 shown]
	v_pk_fma_f32 v[54:55], v[8:9], v[34:35], v[46:47] op_sel:[0,0,1] op_sel_hi:[1,1,0]
	v_pk_fma_f32 v[8:9], v[8:9], v[34:35], v[46:47] op_sel:[0,0,1] op_sel_hi:[1,0,0] neg_lo:[1,0,0] neg_hi:[1,0,0]
	v_pk_fma_f32 v[34:35], v[10:11], v[6:7], v[48:49] op_sel:[0,0,1] op_sel_hi:[1,1,0]
	v_pk_fma_f32 v[6:7], v[10:11], v[6:7], v[48:49] op_sel:[0,0,1] op_sel_hi:[1,0,0] neg_lo:[1,0,0] neg_hi:[1,0,0]
	;; [unrolled: 2-line block ×3, first 2 shown]
	s_waitcnt vmcnt(1)
	v_pk_mul_f32 v[52:53], v[26:27], v[2:3] op_sel:[0,1]
	v_mov_b32_e32 v55, v9
	v_mov_b32_e32 v11, v5
	v_pk_fma_f32 v[20:21], v[26:27], v[2:3], v[52:53] op_sel:[0,0,1] op_sel_hi:[1,1,0]
	v_pk_add_f32 v[4:5], v[36:37], v[54:55] neg_lo:[0,1] neg_hi:[0,1]
	v_pk_add_f32 v[8:9], v[38:39], v[10:11] neg_lo:[0,1] neg_hi:[0,1]
	v_pk_fma_f32 v[2:3], v[26:27], v[2:3], v[52:53] op_sel:[0,0,1] op_sel_hi:[1,0,0] neg_lo:[1,0,0] neg_hi:[1,0,0]
	s_waitcnt vmcnt(0)
	v_pk_mul_f32 v[26:27], v[28:29], v[0:1] op_sel:[0,1]
	v_pk_fma_f32 v[10:11], v[36:37], 2.0, v[4:5] op_sel_hi:[1,0,1] neg_lo:[0,0,1] neg_hi:[0,0,1]
	v_pk_fma_f32 v[36:37], v[38:39], 2.0, v[8:9] op_sel_hi:[1,0,1] neg_lo:[0,0,1] neg_hi:[0,0,1]
	v_pk_fma_f32 v[38:39], v[28:29], v[0:1], v[26:27] op_sel:[0,0,1] op_sel_hi:[1,1,0]
	v_pk_fma_f32 v[0:1], v[28:29], v[0:1], v[26:27] op_sel:[0,0,1] op_sel_hi:[1,0,0] neg_lo:[1,0,0] neg_hi:[1,0,0]
	v_mov_b32_e32 v35, v7
	v_mov_b32_e32 v39, v1
	;; [unrolled: 1-line block ×3, first 2 shown]
	v_pk_add_f32 v[0:1], v[44:45], v[38:39] neg_lo:[0,1] neg_hi:[0,1]
	v_pk_add_f32 v[6:7], v[40:41], v[34:35] neg_lo:[0,1] neg_hi:[0,1]
	;; [unrolled: 1-line block ×3, first 2 shown]
	v_pk_fma_f32 v[26:27], v[44:45], 2.0, v[0:1] op_sel_hi:[1,0,1] neg_lo:[0,0,1] neg_hi:[0,0,1]
	v_pk_fma_f32 v[34:35], v[40:41], 2.0, v[6:7] op_sel_hi:[1,0,1] neg_lo:[0,0,1] neg_hi:[0,0,1]
	;; [unrolled: 1-line block ×3, first 2 shown]
	ds_write2_b64 v33, v[26:27], v[0:1] offset1:26
	ds_write2_b64 v56, v[20:21], v[2:3] offset1:26
	;; [unrolled: 1-line block ×5, first 2 shown]
	v_lshrrev_b16_e32 v33, 12, v60
	v_mul_lo_u16_e32 v0, 52, v33
	v_sub_u16_e32 v34, v106, v0
	v_mov_b32_e32 v0, 9
	v_mul_u32_u24_sdwa v0, v34, v0 dst_sel:DWORD dst_unused:UNUSED_PAD src0_sel:BYTE_0 src1_sel:DWORD
	v_lshlrev_b32_e32 v35, 3, v0
	s_waitcnt lgkmcnt(0)
	s_barrier
	global_load_dwordx4 v[0:3], v35, s[4:5] offset:312
	global_load_dwordx4 v[4:7], v35, s[4:5] offset:328
	;; [unrolled: 1-line block ×4, first 2 shown]
	global_load_dwordx2 v[20:21], v35, s[4:5] offset:376
	v_mul_u32_u24_e32 v33, 0x1040, v33
	v_lshlrev_b32_sdwa v34, v61, v34 dst_sel:DWORD dst_unused:UNUSED_PAD src0_sel:DWORD src1_sel:BYTE_0
	v_add3_u32 v33, 0, v33, v34
	ds_read_b64 v[42:43], v22
	ds_read_b64 v[44:45], v64
	ds_read2_b64 v[34:37], v62 offset0:12 offset1:168
	ds_read_b64 v[46:47], v25
	ds_read2_b64 v[38:41], v63 offset0:68 offset1:224
	ds_read_b64 v[48:49], v23
	ds_read_b64 v[50:51], v32
	ds_read_b64 v[52:53], v25 offset:11232
	s_waitcnt lgkmcnt(0)
	s_barrier
	s_waitcnt vmcnt(4)
	v_pk_mul_f32 v[54:55], v[2:3], v[42:43] op_sel:[0,1]
	s_waitcnt vmcnt(3)
	v_pk_mul_f32 v[56:57], v[6:7], v[44:45] op_sel:[0,1]
	s_waitcnt vmcnt(2)
	v_mov_b32_e32 v58, v11
	s_waitcnt vmcnt(1)
	v_mov_b32_e32 v60, v29
	v_pk_fma_f32 v[68:69], v[2:3], v[42:43], v[54:55] op_sel:[0,0,1] op_sel_hi:[1,1,0]
	v_pk_fma_f32 v[2:3], v[2:3], v[42:43], v[54:55] op_sel:[0,0,1] op_sel_hi:[1,0,0] neg_lo:[1,0,0] neg_hi:[1,0,0]
	v_pk_fma_f32 v[42:43], v[6:7], v[44:45], v[56:57] op_sel:[0,0,1] op_sel_hi:[1,1,0]
	v_pk_fma_f32 v[6:7], v[6:7], v[44:45], v[56:57] op_sel:[0,0,1] op_sel_hi:[1,0,0] neg_lo:[1,0,0] neg_hi:[1,0,0]
	v_pk_mul_f32 v[44:45], v[36:37], v[58:59] op_sel_hi:[1,0]
	v_pk_mul_f32 v[54:55], v[40:41], v[60:61] op_sel_hi:[1,0]
	v_mov_b32_e32 v69, v3
	v_mov_b32_e32 v43, v7
	v_pk_fma_f32 v[2:3], v[36:37], v[10:11], v[44:45] op_sel:[0,0,1] op_sel_hi:[1,1,0]
	v_pk_fma_f32 v[6:7], v[36:37], v[10:11], v[44:45] op_sel:[0,0,1] op_sel_hi:[1,0,0] neg_lo:[0,0,1] neg_hi:[0,0,1]
	v_pk_fma_f32 v[10:11], v[40:41], v[28:29], v[54:55] op_sel:[0,0,1] op_sel_hi:[1,1,0]
	v_pk_fma_f32 v[28:29], v[40:41], v[28:29], v[54:55] op_sel:[0,0,1] op_sel_hi:[1,0,0] neg_lo:[0,0,1] neg_hi:[0,0,1]
	v_pk_mul_f32 v[54:55], v[38:39], v[26:27] op_sel:[0,1]
	v_pk_mul_f32 v[62:63], v[0:1], v[48:49] op_sel:[0,1]
	;; [unrolled: 1-line block ×4, first 2 shown]
	v_mov_b32_e32 v3, v7
	v_pk_fma_f32 v[58:59], v[38:39], v[26:27], v[54:55] op_sel:[0,0,1] op_sel_hi:[1,1,0]
	v_pk_fma_f32 v[26:27], v[38:39], v[26:27], v[54:55] op_sel:[0,0,1] op_sel_hi:[1,0,0] neg_lo:[0,0,1] neg_hi:[0,0,1]
	s_waitcnt vmcnt(0)
	v_pk_mul_f32 v[38:39], v[52:53], v[20:21] op_sel:[0,1]
	v_pk_fma_f32 v[56:57], v[0:1], v[48:49], v[62:63] op_sel:[0,0,1] op_sel_hi:[1,0,0]
	v_pk_fma_f32 v[0:1], v[0:1], v[48:49], v[62:63] op_sel:[0,0,1] op_sel_hi:[1,0,0] neg_lo:[1,0,0] neg_hi:[1,0,0]
	v_pk_fma_f32 v[48:49], v[4:5], v[50:51], v[64:65] op_sel:[0,0,1] op_sel_hi:[1,1,0]
	v_pk_fma_f32 v[4:5], v[4:5], v[50:51], v[64:65] op_sel:[0,0,1] op_sel_hi:[1,0,0] neg_lo:[1,0,0] neg_hi:[1,0,0]
	v_pk_fma_f32 v[50:51], v[8:9], v[34:35], v[66:67] op_sel:[0,0,1] op_sel_hi:[1,1,0]
	v_mov_b32_e32 v11, v29
	v_pk_add_f32 v[28:29], v[42:43], v[2:3]
	v_pk_fma_f32 v[54:55], v[52:53], v[20:21], v[38:39] op_sel:[0,0,1] op_sel_hi:[1,1,0]
	v_pk_fma_f32 v[8:9], v[8:9], v[34:35], v[66:67] op_sel:[0,0,1] op_sel_hi:[1,0,0] neg_lo:[1,0,0] neg_hi:[1,0,0]
	v_pk_add_f32 v[6:7], v[68:69], v[42:43] neg_lo:[0,1] neg_hi:[0,1]
	v_pk_add_f32 v[34:35], v[68:69], v[10:11] neg_lo:[0,1] neg_hi:[0,1]
	;; [unrolled: 1-line block ×3, first 2 shown]
	v_pk_fma_f32 v[28:29], v[28:29], 0.5, v[46:47] op_sel_hi:[1,0,1] neg_lo:[1,0,0] neg_hi:[1,0,0]
	v_mov_b32_e32 v62, v48
	v_mov_b32_e32 v63, v54
	v_mov_b32_e32 v64, v50
	v_mov_b32_e32 v65, v58
	v_pk_add_f32 v[36:37], v[42:43], v[2:3] neg_lo:[0,1] neg_hi:[0,1]
	v_pk_add_f32 v[6:7], v[6:7], v[40:41]
	v_pk_fma_f32 v[40:41], v[34:35], s[0:1], v[28:29] op_sel:[1,0,0] op_sel_hi:[0,0,1]
	v_pk_fma_f32 v[28:29], v[34:35], s[0:1], v[28:29] op_sel:[1,0,0] op_sel_hi:[0,0,1] neg_lo:[1,0,0] neg_hi:[1,0,0]
	v_pk_add_f32 v[66:67], v[62:63], v[64:65] neg_lo:[0,1] neg_hi:[0,1]
	v_pk_fma_f32 v[28:29], v[36:37], s[8:9], v[28:29] op_sel:[1,0,0] op_sel_hi:[0,0,1] neg_lo:[1,0,0] neg_hi:[1,0,0]
	v_pk_fma_f32 v[40:41], v[36:37], s[8:9], v[40:41] op_sel:[1,0,0] op_sel_hi:[0,0,1]
	v_mov_b32_e32 v51, v9
	v_mov_b32_e32 v59, v27
	v_pk_fma_f32 v[20:21], v[52:53], v[20:21], v[38:39] op_sel:[0,0,1] op_sel_hi:[1,0,0] neg_lo:[0,0,1] neg_hi:[0,0,1]
	v_mov_b32_e32 v0, v67
	v_mov_b32_e32 v49, v5
	v_mov_b32_e32 v44, v40
	v_mov_b32_e32 v45, v29
	v_mov_b32_e32 v55, v21
	v_pk_add_f32 v[38:39], v[50:51], v[58:59]
	v_pk_add_f32 v[60:61], v[50:51], v[58:59] neg_lo:[0,1] neg_hi:[0,1]
	v_pk_add_f32 v[66:67], v[66:67], v[0:1]
	v_pk_fma_f32 v[44:45], v[6:7], s[6:7], v[44:45] op_sel_hi:[1,0,1]
	v_fma_f32 v4, -0.5, v38, v56
	v_pk_add_f32 v[52:53], v[48:49], v[54:55] neg_lo:[0,1] neg_hi:[0,1]
	v_mov_b32_e32 v67, v61
	s_mov_b32 s7, s8
	v_fmamk_f32 v8, v53, 0xbf737871, v4
	v_pk_mul_f32 v[66:67], v[66:67], s[6:7]
	v_fmac_f32_e32 v4, 0x3f737871, v53
	v_pk_add_f32 v[62:63], v[64:65], v[62:63] neg_lo:[0,1] neg_hi:[0,1]
	v_sub_f32_e32 v0, v8, v67
	v_add_f32_e32 v4, v67, v4
	v_mov_b32_e32 v8, v63
	v_add_f32_e32 v0, v66, v0
	v_add_f32_e32 v4, v66, v4
	v_pk_add_f32 v[66:67], v[48:49], v[54:55]
	v_mov_b32_e32 v20, v56
	v_pk_add_f32 v[62:63], v[62:63], v[8:9]
	v_fmac_f32_e32 v20, -0.5, v66
	v_mov_b32_e32 v63, v53
	v_fmamk_f32 v26, v61, 0x3f737871, v20
	v_pk_mul_f32 v[62:63], v[62:63], s[6:7]
	v_fmac_f32_e32 v20, 0xbf737871, v61
	v_mov_b32_e32 v57, v1
	v_add_f32_e32 v20, v63, v20
	v_sub_f32_e32 v8, v26, v63
	v_add_f32_e32 v38, v62, v20
	v_pk_add_f32 v[48:49], v[56:57], v[48:49]
	v_mov_b32_e32 v20, v5
	v_mov_b32_e32 v26, v9
	v_pk_add_f32 v[48:49], v[48:49], v[50:51]
	v_pk_add_f32 v[50:51], v[20:21], v[26:27] neg_lo:[0,1] neg_hi:[0,1]
	v_fma_f32 v29, -0.5, v39, v1
	v_mov_b32_e32 v40, v51
	v_pk_add_f32 v[50:51], v[50:51], v[40:41]
	v_pk_add_f32 v[20:21], v[26:27], v[20:21] neg_lo:[0,1] neg_hi:[0,1]
	v_mov_b32_e32 v51, v60
	v_fmamk_f32 v39, v52, 0x3f737871, v29
	v_pk_mul_f32 v[50:51], v[50:51], s[6:7]
	v_mov_b32_e32 v26, v21
	v_add_f32_e32 v5, v51, v39
	v_fmac_f32_e32 v29, 0xbf737871, v52
	v_pk_add_f32 v[20:21], v[20:21], v[26:27]
	v_add_f32_e32 v40, v50, v5
	v_sub_f32_e32 v5, v29, v51
	v_fmac_f32_e32 v1, -0.5, v67
	v_mov_b32_e32 v21, v52
	v_add_f32_e32 v50, v50, v5
	v_fmamk_f32 v5, v60, 0xbf737871, v1
	v_pk_mul_f32 v[20:21], v[20:21], s[6:7]
	v_fmac_f32_e32 v1, 0x3f737871, v60
	v_add_f32_e32 v5, v21, v5
	v_sub_f32_e32 v1, v1, v21
	v_add_f32_e32 v26, v20, v5
	v_add_f32_e32 v52, v20, v1
	v_pk_add_f32 v[20:21], v[46:47], v[68:69]
	v_pk_add_f32 v[48:49], v[48:49], v[58:59]
	;; [unrolled: 1-line block ×5, first 2 shown]
	v_mov_b32_e32 v29, v41
	v_pk_add_f32 v[54:55], v[20:21], v[10:11]
	v_pk_mul_f32 v[20:21], v[50:51], s[8:9] op_sel_hi:[0,1]
	v_pk_fma_f32 v[4:5], v[4:5], s[12:13], v[20:21] op_sel_hi:[0,1,1] neg_lo:[0,0,1] neg_hi:[0,0,1]
	v_pk_fma_f32 v[6:7], v[6:7], s[6:7], v[28:29] op_sel_hi:[1,0,1]
	s_mov_b32 s12, s9
	v_pk_mul_f32 v[28:29], v[40:41], s[8:9] op_sel_hi:[0,1]
	v_pk_fma_f32 v[40:41], v[0:1], s[12:13], v[28:29] neg_lo:[0,0,1] neg_hi:[0,0,1]
	v_pk_fma_f32 v[0:1], v[0:1], s[12:13], v[28:29] op_sel_hi:[0,1,1]
	v_mov_b32_e32 v41, v1
	v_pk_add_f32 v[50:51], v[54:55], v[48:49]
	v_pk_add_f32 v[0:1], v[6:7], v[40:41]
	ds_write2_b64 v33, v[50:51], v[0:1] offset1:52
	v_pk_add_f32 v[0:1], v[68:69], v[10:11]
	v_pk_add_f32 v[2:3], v[2:3], v[10:11] neg_lo:[0,1] neg_hi:[0,1]
	v_pk_fma_f32 v[0:1], v[0:1], 0.5, v[46:47] op_sel_hi:[1,0,1] neg_lo:[1,0,0] neg_hi:[1,0,0]
	v_pk_add_f32 v[28:29], v[42:43], v[68:69] neg_lo:[0,1] neg_hi:[0,1]
	v_pk_fma_f32 v[10:11], v[36:37], s[0:1], v[0:1] op_sel:[1,0,0] op_sel_hi:[0,0,1]
	v_pk_fma_f32 v[0:1], v[36:37], s[0:1], v[0:1] op_sel:[1,0,0] op_sel_hi:[0,0,1] neg_lo:[1,0,0] neg_hi:[1,0,0]
	v_pk_fma_f32 v[0:1], v[34:35], s[8:9], v[0:1] op_sel:[1,0,0] op_sel_hi:[0,0,1]
	v_pk_fma_f32 v[10:11], v[34:35], s[8:9], v[10:11] op_sel:[1,0,0] op_sel_hi:[0,0,1] neg_lo:[1,0,0] neg_hi:[1,0,0]
	v_pk_add_f32 v[2:3], v[28:29], v[2:3]
	v_mov_b32_e32 v28, v10
	v_mov_b32_e32 v29, v1
	s_mov_b32 s1, s6
	v_add_f32_e32 v8, v62, v8
	v_pk_fma_f32 v[28:29], v[2:3], s[6:7], v[28:29] op_sel_hi:[1,0,1]
	s_mov_b32 s7, s0
	v_pk_mul_f32 v[26:27], v[26:27], s[0:1] op_sel_hi:[0,1]
	v_pk_fma_f32 v[34:35], v[8:9], s[6:7], v[26:27] neg_lo:[0,0,1] neg_hi:[0,0,1]
	v_pk_fma_f32 v[8:9], v[8:9], s[6:7], v[26:27] op_sel_hi:[0,1,1]
	s_mov_b32 s8, 0xbe9e377a
	s_mov_b32 s9, s0
	v_pk_mul_f32 v[26:27], v[52:53], s[0:1] op_sel_hi:[0,1]
	v_mov_b32_e32 v1, v11
	v_mov_b32_e32 v35, v9
	v_pk_fma_f32 v[26:27], v[38:39], s[8:9], v[26:27] op_sel_hi:[0,1,1] neg_lo:[0,0,1] neg_hi:[0,0,1]
	v_pk_fma_f32 v[0:1], v[2:3], s[6:7], v[0:1] op_sel_hi:[1,0,1]
	v_pk_add_f32 v[8:9], v[28:29], v[34:35]
	v_pk_add_f32 v[2:3], v[0:1], v[26:27]
	v_pk_add_f32 v[20:21], v[44:45], v[4:5] neg_lo:[0,1] neg_hi:[0,1]
	ds_write2_b64 v33, v[8:9], v[2:3] offset0:104 offset1:156
	v_pk_add_f32 v[2:3], v[44:45], v[4:5]
	v_pk_add_f32 v[4:5], v[54:55], v[48:49] neg_lo:[0,1] neg_hi:[0,1]
	v_add_u32_e32 v8, 0x400, v33
	ds_write2_b64 v8, v[2:3], v[4:5] offset0:80 offset1:132
	v_pk_add_f32 v[2:3], v[6:7], v[40:41] neg_lo:[0,1] neg_hi:[0,1]
	v_add_u32_e32 v6, 0x800, v33
	v_pk_add_f32 v[0:1], v[0:1], v[26:27] neg_lo:[0,1] neg_hi:[0,1]
	v_pk_add_f32 v[4:5], v[28:29], v[34:35] neg_lo:[0,1] neg_hi:[0,1]
	ds_write2_b64 v6, v[0:1], v[20:21] offset0:160 offset1:212
	v_add_u32_e32 v0, 0x1000, v25
	ds_write2_b64 v6, v[2:3], v[4:5] offset0:56 offset1:108
	s_waitcnt lgkmcnt(0)
	s_barrier
	ds_read2_b64 v[8:11], v0 offset0:8 offset1:164
	v_add_u32_e32 v0, 0x1a00, v25
	ds_read2_b64 v[4:7], v0 offset1:208
	v_add_u32_e32 v0, 0x2400, v25
	ds_read2_b64 v[0:3], v0 offset0:44 offset1:200
	ds_read_b64 v[28:29], v25
	ds_read_b64 v[26:27], v23
	;; [unrolled: 1-line block ×3, first 2 shown]
	v_cmp_gt_u32_e64 s[0:1], 52, v106
	s_and_saveexec_b64 s[6:7], s[0:1]
	s_cbranch_execz .LBB0_15
; %bb.14:
	ds_read_b64 v[18:19], v25 offset:7904
	ds_read_b64 v[20:21], v32
	ds_read_b64 v[16:17], v25 offset:12064
.LBB0_15:
	s_or_b64 exec, exec, s[6:7]
	s_and_saveexec_b64 s[6:7], vcc
	s_cbranch_execz .LBB0_18
; %bb.16:
	v_lshlrev_b32_e32 v24, 1, v24
	v_mov_b32_e32 v25, 0
	v_lshl_add_u64 v[40:41], v[24:25], 3, s[4:5]
	v_lshlrev_b32_e32 v24, 1, v31
	v_lshl_add_u64 v[42:43], v[24:25], 3, s[4:5]
	v_lshlrev_b32_e32 v24, 1, v106
	v_lshl_add_u64 v[44:45], v[24:25], 3, s[4:5]
	global_load_dwordx4 v[32:35], v[42:43], off offset:4056
	global_load_dwordx4 v[36:39], v[44:45], off offset:4056
	v_mul_lo_u32 v24, s3, v14
	v_mul_lo_u32 v31, s2, v15
	v_mad_u64_u32 v[14:15], s[2:3], s2, v14, 0
	v_mad_u64_u32 v[44:45], s[2:3], s16, v106, 0
	v_add3_u32 v15, v15, v31, v24
	v_mov_b32_e32 v24, v45
	v_mad_u64_u32 v[42:43], s[6:7], s17, v106, v[24:25]
	v_mov_b32_e32 v45, v42
	global_load_dwordx4 v[40:43], v[40:41], off offset:4056
	v_add_u32_e32 v57, 0x208, v106
	v_add_u32_e32 v59, 0x410, v106
	v_add_u32_e32 v61, 0x9c, v106
	v_add_u32_e32 v63, 0x2a4, v106
	v_add_u32_e32 v64, 0x4ac, v106
	v_mad_u64_u32 v[46:47], s[6:7], s16, v57, 0
	v_mad_u64_u32 v[48:49], s[6:7], s16, v59, 0
	v_mad_u64_u32 v[50:51], s[6:7], s16, v61, 0
	v_mad_u64_u32 v[52:53], s[6:7], s16, v63, 0
	v_mad_u64_u32 v[54:55], s[6:7], s16, v64, 0
	v_lshl_add_u64 v[14:15], v[14:15], 3, s[10:11]
	v_mov_b32_e32 v24, v47
	v_mov_b32_e32 v56, v49
	;; [unrolled: 1-line block ×5, first 2 shown]
	v_lshl_add_u64 v[12:13], v[12:13], 3, v[14:15]
	v_mad_u64_u32 v[14:15], s[6:7], s17, v57, v[24:25]
	v_mad_u64_u32 v[56:57], s[6:7], s17, v59, v[56:57]
	;; [unrolled: 1-line block ×5, first 2 shown]
	v_mov_b32_e32 v47, v14
	v_mov_b32_e32 v49, v56
	;; [unrolled: 1-line block ×5, first 2 shown]
	v_lshl_add_u64 v[14:15], v[46:47], 3, v[12:13]
	v_lshl_add_u64 v[46:47], v[48:49], 3, v[12:13]
	;; [unrolled: 1-line block ×5, first 2 shown]
	s_movk_i32 s3, 0x410
	s_mov_b32 s2, 0x3f5db3d7
	v_lshl_add_u64 v[44:45], v[44:45], 3, v[12:13]
	s_mov_b32 s6, 0xfc0fc0fd
	s_waitcnt vmcnt(2) lgkmcnt(5)
	v_pk_mul_f32 v[54:55], v[32:33], v[10:11] op_sel:[0,1]
	s_waitcnt vmcnt(1)
	v_pk_mul_f32 v[56:57], v[36:37], v[8:9] op_sel:[0,1]
	s_waitcnt lgkmcnt(4)
	v_pk_mul_f32 v[58:59], v[38:39], v[6:7] op_sel:[0,1]
	v_pk_fma_f32 v[60:61], v[32:33], v[10:11], v[54:55] op_sel:[0,0,1] op_sel_hi:[1,1,0]
	v_pk_fma_f32 v[10:11], v[32:33], v[10:11], v[54:55] op_sel:[0,0,1] op_sel_hi:[1,0,0] neg_lo:[1,0,0] neg_hi:[1,0,0]
	v_pk_fma_f32 v[32:33], v[36:37], v[8:9], v[56:57] op_sel:[0,0,1] op_sel_hi:[1,1,0]
	v_pk_fma_f32 v[8:9], v[36:37], v[8:9], v[56:57] op_sel:[0,0,1] op_sel_hi:[1,0,0] neg_lo:[1,0,0] neg_hi:[1,0,0]
	;; [unrolled: 2-line block ×3, first 2 shown]
	v_mov_b32_e32 v33, v9
	v_mov_b32_e32 v37, v7
	v_pk_add_f32 v[6:7], v[32:33], v[36:37]
	v_pk_add_f32 v[8:9], v[32:33], v[36:37] neg_lo:[0,1] neg_hi:[0,1]
	s_waitcnt lgkmcnt(2)
	v_pk_fma_f32 v[6:7], v[6:7], 0.5, v[28:29] op_sel_hi:[1,0,1] neg_lo:[1,0,0] neg_hi:[1,0,0]
	v_pk_mul_f32 v[8:9], v[8:9], s[2:3] op_sel_hi:[1,0]
	v_mov_b32_e32 v61, v11
	v_pk_add_f32 v[10:11], v[28:29], v[32:33]
	v_pk_add_f32 v[28:29], v[6:7], v[8:9] op_sel:[0,1] op_sel_hi:[1,0]
	v_pk_add_f32 v[6:7], v[6:7], v[8:9] op_sel:[0,1] op_sel_hi:[1,0] neg_lo:[0,1] neg_hi:[0,1]
	v_pk_add_f32 v[10:11], v[10:11], v[36:37]
	v_mov_b32_e32 v8, v6
	v_mov_b32_e32 v9, v29
	v_mov_b32_e32 v29, v7
	v_pk_mul_f32 v[6:7], v[34:35], v[0:1] op_sel:[0,1]
	global_store_dwordx2 v[44:45], v[10:11], off
	global_store_dwordx2 v[14:15], v[8:9], off
	;; [unrolled: 1-line block ×3, first 2 shown]
	v_pk_fma_f32 v[8:9], v[34:35], v[0:1], v[6:7] op_sel:[0,0,1] op_sel_hi:[1,1,0]
	v_pk_fma_f32 v[0:1], v[34:35], v[0:1], v[6:7] op_sel:[0,0,1] op_sel_hi:[1,0,0] neg_lo:[1,0,0] neg_hi:[1,0,0]
	s_nop 0
	v_mov_b32_e32 v9, v1
	v_pk_add_f32 v[0:1], v[60:61], v[8:9]
	v_pk_add_f32 v[6:7], v[60:61], v[8:9] neg_lo:[0,1] neg_hi:[0,1]
	s_waitcnt lgkmcnt(1)
	v_pk_fma_f32 v[0:1], v[0:1], 0.5, v[26:27] op_sel_hi:[1,0,1] neg_lo:[1,0,0] neg_hi:[1,0,0]
	v_pk_mul_f32 v[6:7], v[6:7], s[2:3] op_sel_hi:[1,0]
	s_nop 0
	v_pk_add_f32 v[10:11], v[0:1], v[6:7] op_sel:[0,1] op_sel_hi:[1,0]
	v_pk_add_f32 v[0:1], v[0:1], v[6:7] op_sel:[0,1] op_sel_hi:[1,0] neg_lo:[0,1] neg_hi:[0,1]
	v_pk_add_f32 v[6:7], v[26:27], v[60:61]
	s_nop 0
	v_pk_add_f32 v[6:7], v[6:7], v[8:9]
	global_store_dwordx2 v[48:49], v[6:7], off
	v_mov_b32_e32 v6, v0
	v_add_u32_e32 v0, 0x138, v106
	v_mov_b32_e32 v7, v11
	v_mov_b32_e32 v11, v1
	v_mul_hi_u32 v1, v0, s6
	v_lshrrev_b32_e32 v1, 9, v1
	global_store_dwordx2 v[50:51], v[6:7], off
	global_store_dwordx2 v[52:53], v[10:11], off
	v_mad_u32_u24 v10, v1, s3, v0
	v_mad_u64_u32 v[0:1], s[6:7], s16, v10, 0
	v_mov_b32_e32 v6, v1
	v_mad_u64_u32 v[6:7], s[6:7], s17, v10, v[6:7]
	v_add_u32_e32 v9, 0x208, v10
	v_mov_b32_e32 v1, v6
	v_mad_u64_u32 v[6:7], s[6:7], s16, v9, 0
	v_mov_b32_e32 v8, v7
	v_mad_u64_u32 v[8:9], s[6:7], s17, v9, v[8:9]
	v_add_u32_e32 v11, 0x410, v10
	v_mov_b32_e32 v7, v8
	v_mad_u64_u32 v[8:9], s[6:7], s16, v11, 0
	v_mov_b32_e32 v10, v9
	v_mad_u64_u32 v[10:11], s[6:7], s17, v11, v[10:11]
	v_mov_b32_e32 v9, v10
	s_waitcnt vmcnt(6)
	v_pk_mul_f32 v[10:11], v[40:41], v[4:5] op_sel:[0,1]
	v_lshl_add_u64 v[0:1], v[0:1], 3, v[12:13]
	v_pk_fma_f32 v[14:15], v[40:41], v[4:5], v[10:11] op_sel:[0,0,1] op_sel_hi:[1,1,0]
	v_pk_fma_f32 v[4:5], v[40:41], v[4:5], v[10:11] op_sel:[0,0,1] op_sel_hi:[1,0,0] neg_lo:[1,0,0] neg_hi:[1,0,0]
	v_lshl_add_u64 v[6:7], v[6:7], 3, v[12:13]
	v_mov_b32_e32 v15, v5
	v_pk_mul_f32 v[4:5], v[42:43], v[2:3] op_sel:[0,1]
	v_lshl_add_u64 v[8:9], v[8:9], 3, v[12:13]
	v_pk_fma_f32 v[10:11], v[42:43], v[2:3], v[4:5] op_sel:[0,0,1] op_sel_hi:[1,1,0]
	v_pk_fma_f32 v[2:3], v[42:43], v[2:3], v[4:5] op_sel:[0,0,1] op_sel_hi:[1,0,0] neg_lo:[1,0,0] neg_hi:[1,0,0]
	s_nop 0
	v_mov_b32_e32 v11, v3
	v_pk_add_f32 v[2:3], v[10:11], v[14:15]
	v_pk_add_f32 v[4:5], v[14:15], v[10:11] neg_lo:[0,1] neg_hi:[0,1]
	s_waitcnt lgkmcnt(0)
	v_pk_fma_f32 v[2:3], v[2:3], 0.5, v[22:23] op_sel_hi:[1,0,1] neg_lo:[1,0,0] neg_hi:[1,0,0]
	v_pk_mul_f32 v[4:5], v[4:5], s[2:3] op_sel_hi:[1,0]
	s_nop 0
	v_pk_add_f32 v[26:27], v[2:3], v[4:5] op_sel:[0,1] op_sel_hi:[1,0]
	v_pk_add_f32 v[2:3], v[2:3], v[4:5] op_sel:[0,1] op_sel_hi:[1,0] neg_lo:[0,1] neg_hi:[0,1]
	v_pk_add_f32 v[4:5], v[22:23], v[14:15]
	s_nop 0
	v_pk_add_f32 v[4:5], v[10:11], v[4:5]
	global_store_dwordx2 v[0:1], v[4:5], off
	v_mov_b32_e32 v0, v2
	v_mov_b32_e32 v1, v27
	;; [unrolled: 1-line block ×3, first 2 shown]
	global_store_dwordx2 v[6:7], v[0:1], off
	global_store_dwordx2 v[8:9], v[26:27], off
	s_and_b64 exec, exec, s[0:1]
	s_cbranch_execz .LBB0_18
; %bb.17:
	v_subrev_u32_e32 v0, 52, v106
	v_cndmask_b32_e64 v0, v0, v30, s[0:1]
	v_lshlrev_b32_e32 v24, 1, v0
	v_lshl_add_u64 v[0:1], v[24:25], 3, s[4:5]
	global_load_dwordx4 v[0:3], v[0:1], off offset:4056
	v_add_u32_e32 v5, 0x1d4, v106
	v_add_u32_e32 v23, 0x3dc, v106
	;; [unrolled: 1-line block ×3, first 2 shown]
	v_mad_u64_u32 v[6:7], s[0:1], s16, v5, 0
	v_mad_u64_u32 v[8:9], s[0:1], s16, v23, 0
	;; [unrolled: 1-line block ×3, first 2 shown]
	v_mov_b32_e32 v14, v7
	v_mov_b32_e32 v22, v9
	;; [unrolled: 1-line block ×3, first 2 shown]
	v_mad_u64_u32 v[14:15], s[0:1], s17, v5, v[14:15]
	v_mad_u64_u32 v[22:23], s[0:1], s17, v23, v[22:23]
	v_mad_u64_u32 v[24:25], s[0:1], s17, v25, v[24:25]
	v_mov_b32_e32 v4, v19
	v_mov_b32_e32 v7, v14
	;; [unrolled: 1-line block ×4, first 2 shown]
	v_lshl_add_u64 v[6:7], v[6:7], 3, v[12:13]
	v_lshl_add_u64 v[8:9], v[8:9], 3, v[12:13]
	;; [unrolled: 1-line block ×3, first 2 shown]
	s_waitcnt vmcnt(0)
	v_pk_mul_f32 v[4:5], v[4:5], v[0:1] op_sel_hi:[0,1]
	v_pk_mul_f32 v[12:13], v[16:17], v[2:3] op_sel:[1,0]
	v_pk_fma_f32 v[14:15], v[18:19], v[0:1], v[4:5] op_sel:[0,0,1] op_sel_hi:[1,1,0]
	v_pk_fma_f32 v[0:1], v[18:19], v[0:1], v[4:5] op_sel:[0,0,1] op_sel_hi:[0,1,0] neg_lo:[1,0,0] neg_hi:[1,0,0]
	v_pk_fma_f32 v[4:5], v[16:17], v[2:3], v[12:13] op_sel:[0,0,1] op_sel_hi:[1,1,0]
	v_pk_fma_f32 v[2:3], v[16:17], v[2:3], v[12:13] op_sel:[0,0,1] op_sel_hi:[0,1,0] neg_lo:[1,0,0] neg_hi:[1,0,0]
	v_mov_b32_e32 v15, v1
	v_mov_b32_e32 v5, v3
	v_pk_add_f32 v[0:1], v[14:15], v[4:5]
	v_pk_add_f32 v[2:3], v[14:15], v[4:5] neg_lo:[0,1] neg_hi:[0,1]
	v_pk_add_f32 v[12:13], v[20:21], v[14:15]
	v_pk_fma_f32 v[0:1], -0.5, v[0:1], v[20:21] op_sel_hi:[0,1,1]
	v_pk_mul_f32 v[2:3], v[2:3], s[2:3] op_sel_hi:[1,0]
	v_pk_add_f32 v[4:5], v[12:13], v[4:5]
	v_pk_add_f32 v[12:13], v[0:1], v[2:3] op_sel:[0,1] op_sel_hi:[1,0] neg_lo:[0,1] neg_hi:[0,1]
	v_pk_add_f32 v[0:1], v[0:1], v[2:3] op_sel:[0,1] op_sel_hi:[1,0]
	v_mov_b32_e32 v2, v12
	v_mov_b32_e32 v3, v1
	global_store_dwordx2 v[6:7], v[4:5], off
	v_mov_b32_e32 v1, v13
	global_store_dwordx2 v[8:9], v[2:3], off
	global_store_dwordx2 v[10:11], v[0:1], off
.LBB0_18:
	s_endpgm
	.section	.rodata,"a",@progbits
	.p2align	6, 0x0
	.amdhsa_kernel fft_rtc_back_len1560_factors_13_2_2_10_3_wgs_156_tpt_156_sp_op_CI_CI_sbrr_dirReg
		.amdhsa_group_segment_fixed_size 0
		.amdhsa_private_segment_fixed_size 0
		.amdhsa_kernarg_size 104
		.amdhsa_user_sgpr_count 2
		.amdhsa_user_sgpr_dispatch_ptr 0
		.amdhsa_user_sgpr_queue_ptr 0
		.amdhsa_user_sgpr_kernarg_segment_ptr 1
		.amdhsa_user_sgpr_dispatch_id 0
		.amdhsa_user_sgpr_kernarg_preload_length 0
		.amdhsa_user_sgpr_kernarg_preload_offset 0
		.amdhsa_user_sgpr_private_segment_size 0
		.amdhsa_uses_dynamic_stack 0
		.amdhsa_enable_private_segment 0
		.amdhsa_system_sgpr_workgroup_id_x 1
		.amdhsa_system_sgpr_workgroup_id_y 0
		.amdhsa_system_sgpr_workgroup_id_z 0
		.amdhsa_system_sgpr_workgroup_info 0
		.amdhsa_system_vgpr_workitem_id 0
		.amdhsa_next_free_vgpr 114
		.amdhsa_next_free_sgpr 42
		.amdhsa_accum_offset 116
		.amdhsa_reserve_vcc 1
		.amdhsa_float_round_mode_32 0
		.amdhsa_float_round_mode_16_64 0
		.amdhsa_float_denorm_mode_32 3
		.amdhsa_float_denorm_mode_16_64 3
		.amdhsa_dx10_clamp 1
		.amdhsa_ieee_mode 1
		.amdhsa_fp16_overflow 0
		.amdhsa_tg_split 0
		.amdhsa_exception_fp_ieee_invalid_op 0
		.amdhsa_exception_fp_denorm_src 0
		.amdhsa_exception_fp_ieee_div_zero 0
		.amdhsa_exception_fp_ieee_overflow 0
		.amdhsa_exception_fp_ieee_underflow 0
		.amdhsa_exception_fp_ieee_inexact 0
		.amdhsa_exception_int_div_zero 0
	.end_amdhsa_kernel
	.text
.Lfunc_end0:
	.size	fft_rtc_back_len1560_factors_13_2_2_10_3_wgs_156_tpt_156_sp_op_CI_CI_sbrr_dirReg, .Lfunc_end0-fft_rtc_back_len1560_factors_13_2_2_10_3_wgs_156_tpt_156_sp_op_CI_CI_sbrr_dirReg
                                        ; -- End function
	.section	.AMDGPU.csdata,"",@progbits
; Kernel info:
; codeLenInByte = 8404
; NumSgprs: 48
; NumVgprs: 114
; NumAgprs: 0
; TotalNumVgprs: 114
; ScratchSize: 0
; MemoryBound: 0
; FloatMode: 240
; IeeeMode: 1
; LDSByteSize: 0 bytes/workgroup (compile time only)
; SGPRBlocks: 5
; VGPRBlocks: 14
; NumSGPRsForWavesPerEU: 48
; NumVGPRsForWavesPerEU: 114
; AccumOffset: 116
; Occupancy: 4
; WaveLimiterHint : 1
; COMPUTE_PGM_RSRC2:SCRATCH_EN: 0
; COMPUTE_PGM_RSRC2:USER_SGPR: 2
; COMPUTE_PGM_RSRC2:TRAP_HANDLER: 0
; COMPUTE_PGM_RSRC2:TGID_X_EN: 1
; COMPUTE_PGM_RSRC2:TGID_Y_EN: 0
; COMPUTE_PGM_RSRC2:TGID_Z_EN: 0
; COMPUTE_PGM_RSRC2:TIDIG_COMP_CNT: 0
; COMPUTE_PGM_RSRC3_GFX90A:ACCUM_OFFSET: 28
; COMPUTE_PGM_RSRC3_GFX90A:TG_SPLIT: 0
	.text
	.p2alignl 6, 3212836864
	.fill 256, 4, 3212836864
	.type	__hip_cuid_98b3ebfdb01c84c7,@object ; @__hip_cuid_98b3ebfdb01c84c7
	.section	.bss,"aw",@nobits
	.globl	__hip_cuid_98b3ebfdb01c84c7
__hip_cuid_98b3ebfdb01c84c7:
	.byte	0                               ; 0x0
	.size	__hip_cuid_98b3ebfdb01c84c7, 1

	.ident	"AMD clang version 19.0.0git (https://github.com/RadeonOpenCompute/llvm-project roc-6.4.0 25133 c7fe45cf4b819c5991fe208aaa96edf142730f1d)"
	.section	".note.GNU-stack","",@progbits
	.addrsig
	.addrsig_sym __hip_cuid_98b3ebfdb01c84c7
	.amdgpu_metadata
---
amdhsa.kernels:
  - .agpr_count:     0
    .args:
      - .actual_access:  read_only
        .address_space:  global
        .offset:         0
        .size:           8
        .value_kind:     global_buffer
      - .offset:         8
        .size:           8
        .value_kind:     by_value
      - .actual_access:  read_only
        .address_space:  global
        .offset:         16
        .size:           8
        .value_kind:     global_buffer
      - .actual_access:  read_only
        .address_space:  global
        .offset:         24
        .size:           8
        .value_kind:     global_buffer
      - .actual_access:  read_only
        .address_space:  global
        .offset:         32
        .size:           8
        .value_kind:     global_buffer
      - .offset:         40
        .size:           8
        .value_kind:     by_value
      - .actual_access:  read_only
        .address_space:  global
        .offset:         48
        .size:           8
        .value_kind:     global_buffer
      - .actual_access:  read_only
        .address_space:  global
        .offset:         56
        .size:           8
        .value_kind:     global_buffer
      - .offset:         64
        .size:           4
        .value_kind:     by_value
      - .actual_access:  read_only
        .address_space:  global
        .offset:         72
        .size:           8
        .value_kind:     global_buffer
      - .actual_access:  read_only
        .address_space:  global
        .offset:         80
        .size:           8
        .value_kind:     global_buffer
      - .actual_access:  read_only
        .address_space:  global
        .offset:         88
        .size:           8
        .value_kind:     global_buffer
      - .actual_access:  write_only
        .address_space:  global
        .offset:         96
        .size:           8
        .value_kind:     global_buffer
    .group_segment_fixed_size: 0
    .kernarg_segment_align: 8
    .kernarg_segment_size: 104
    .language:       OpenCL C
    .language_version:
      - 2
      - 0
    .max_flat_workgroup_size: 156
    .name:           fft_rtc_back_len1560_factors_13_2_2_10_3_wgs_156_tpt_156_sp_op_CI_CI_sbrr_dirReg
    .private_segment_fixed_size: 0
    .sgpr_count:     48
    .sgpr_spill_count: 0
    .symbol:         fft_rtc_back_len1560_factors_13_2_2_10_3_wgs_156_tpt_156_sp_op_CI_CI_sbrr_dirReg.kd
    .uniform_work_group_size: 1
    .uses_dynamic_stack: false
    .vgpr_count:     114
    .vgpr_spill_count: 0
    .wavefront_size: 64
amdhsa.target:   amdgcn-amd-amdhsa--gfx950
amdhsa.version:
  - 1
  - 2
...

	.end_amdgpu_metadata
